;; amdgpu-corpus repo=ROCm/rccl kind=compiled arch=gfx906 opt=O3
	.amdgcn_target "amdgcn-amd-amdhsa--gfx906"
	.amdhsa_code_object_version 6
	.text
	.p2align	2                               ; -- Begin function __ockl_fprintf_append_string_n
	.type	__ockl_fprintf_append_string_n,@function
__ockl_fprintf_append_string_n:         ; @__ockl_fprintf_append_string_n
; %bb.0:
	s_waitcnt vmcnt(0) expcnt(0) lgkmcnt(0)
	v_or_b32_e32 v2, 2, v0
	v_cmp_eq_u32_e32 vcc, 0, v6
	s_getpc_b64 s[4:5]
	s_add_u32 s4, s4, .str.3@rel32@lo+4
	s_addc_u32 s5, s5, .str.3@rel32@hi+12
	s_mov_b32 s20, 0
	v_cndmask_b32_e32 v36, v2, v0, vcc
	s_mov_b64 s[6:7], 0
	s_cmp_lg_u64 s[4:5], 0
	v_mbcnt_lo_u32_b32 v37, -1, 0
	s_cbranch_scc0 .LBB0_112
; %bb.1:
	s_load_dwordx2 s[10:11], s[8:9], 0x50
	s_getpc_b64 s[4:5]
	s_add_u32 s4, s4, .str.3@rel32@lo+4
	s_addc_u32 s5, s5, .str.3@rel32@hi+12
	v_and_b32_e32 v0, -3, v36
	v_mov_b32_e32 v31, s5
	v_mov_b32_e32 v11, v1
	v_and_b32_e32 v38, 2, v36
	v_mov_b32_e32 v3, 0
	v_mbcnt_hi_u32_b32 v39, -1, v37
	v_mov_b32_e32 v30, s4
	s_movk_i32 s21, 0x1e0
	v_mov_b32_e32 v8, 2
	v_mov_b32_e32 v9, 1
	;; [unrolled: 1-line block ×3, first 2 shown]
	s_branch .LBB0_3
.LBB0_2:                                ;   in Loop: Header=BB0_3 Depth=1
	s_or_b64 exec, exec, s[14:15]
	v_sub_co_u32_e32 v4, vcc, v4, v32
	v_subb_co_u32_e32 v5, vcc, v5, v33, vcc
	v_cmp_eq_u64_e32 vcc, 0, v[4:5]
	s_or_b64 s[6:7], vcc, s[6:7]
	v_add_co_u32_e32 v30, vcc, v30, v32
	v_addc_co_u32_e32 v31, vcc, v31, v33, vcc
	s_andn2_b64 exec, exec, s[6:7]
	s_cbranch_execz .LBB0_85
.LBB0_3:                                ; =>This Loop Header: Depth=1
                                        ;     Child Loop BB0_6 Depth 2
                                        ;     Child Loop BB0_14 Depth 2
	;; [unrolled: 1-line block ×11, first 2 shown]
	v_cmp_gt_u64_e32 vcc, 56, v[4:5]
	v_add_co_u32_e64 v16, s[4:5], 8, v30
	v_cndmask_b32_e32 v33, 0, v5, vcc
	v_cndmask_b32_e32 v32, 56, v4, vcc
	v_cmp_gt_u64_e32 vcc, 8, v[4:5]
	v_addc_co_u32_e64 v17, s[4:5], 0, v31, s[4:5]
	s_and_saveexec_b64 s[4:5], vcc
	s_xor_b64 s[4:5], exec, s[4:5]
	s_cbranch_execz .LBB0_9
; %bb.4:                                ;   in Loop: Header=BB0_3 Depth=1
	s_waitcnt vmcnt(0)
	v_mov_b32_e32 v12, 0
	v_cmp_ne_u64_e32 vcc, 0, v[4:5]
	v_mov_b32_e32 v13, 0
	s_and_saveexec_b64 s[12:13], vcc
	s_cbranch_execz .LBB0_8
; %bb.5:                                ;   in Loop: Header=BB0_3 Depth=1
	v_lshlrev_b64 v[6:7], 3, v[32:33]
	v_mov_b32_e32 v12, 0
	v_mov_b32_e32 v14, v30
	s_mov_b64 s[14:15], 0
	v_mov_b32_e32 v13, 0
	v_mov_b32_e32 v15, v31
	s_mov_b64 s[16:17], 0
.LBB0_6:                                ;   Parent Loop BB0_3 Depth=1
                                        ; =>  This Inner Loop Header: Depth=2
	global_load_ubyte v0, v[14:15], off
	v_mov_b32_e32 v17, s20
	v_add_co_u32_e32 v14, vcc, 1, v14
	v_addc_co_u32_e32 v15, vcc, 0, v15, vcc
	s_waitcnt vmcnt(0)
	v_and_b32_e32 v16, 0xffff, v0
	v_lshlrev_b64 v[16:17], s16, v[16:17]
	s_add_u32 s16, s16, 8
	s_addc_u32 s17, s17, 0
	v_cmp_eq_u32_e32 vcc, s16, v6
	v_or_b32_e32 v13, v17, v13
	s_or_b64 s[14:15], vcc, s[14:15]
	v_or_b32_e32 v12, v16, v12
	s_andn2_b64 exec, exec, s[14:15]
	s_cbranch_execnz .LBB0_6
; %bb.7:                                ;   in Loop: Header=BB0_3 Depth=1
	s_or_b64 exec, exec, s[14:15]
.LBB0_8:                                ;   in Loop: Header=BB0_3 Depth=1
	s_or_b64 exec, exec, s[12:13]
	v_mov_b32_e32 v16, v30
	v_mov_b32_e32 v17, v31
.LBB0_9:                                ;   in Loop: Header=BB0_3 Depth=1
	s_or_saveexec_b64 s[4:5], s[4:5]
	v_mov_b32_e32 v0, 0
	s_xor_b64 exec, exec, s[4:5]
	s_cbranch_execz .LBB0_11
; %bb.10:                               ;   in Loop: Header=BB0_3 Depth=1
	global_load_dwordx2 v[12:13], v[30:31], off
	v_add_u32_e32 v0, -8, v32
.LBB0_11:                               ;   in Loop: Header=BB0_3 Depth=1
	s_or_b64 exec, exec, s[4:5]
	v_add_co_u32_e64 v6, s[4:5], 8, v16
	v_cmp_gt_u32_e32 vcc, 8, v0
	v_addc_co_u32_e64 v7, s[4:5], 0, v17, s[4:5]
                                        ; implicit-def: $vgpr14_vgpr15
	s_and_saveexec_b64 s[4:5], vcc
	s_xor_b64 s[4:5], exec, s[4:5]
	s_cbranch_execz .LBB0_17
; %bb.12:                               ;   in Loop: Header=BB0_3 Depth=1
	v_mov_b32_e32 v14, 0
	v_mov_b32_e32 v15, 0
	v_cmp_ne_u32_e32 vcc, 0, v0
	s_and_saveexec_b64 s[12:13], vcc
	s_cbranch_execz .LBB0_16
; %bb.13:                               ;   in Loop: Header=BB0_3 Depth=1
	v_mov_b32_e32 v14, 0
	s_mov_b64 s[14:15], 0
	v_mov_b32_e32 v15, 0
	s_mov_b64 s[16:17], 0
	s_mov_b64 s[18:19], 0
.LBB0_14:                               ;   Parent Loop BB0_3 Depth=1
                                        ; =>  This Inner Loop Header: Depth=2
	v_mov_b32_e32 v2, s19
	v_add_co_u32_e32 v6, vcc, s18, v16
	v_addc_co_u32_e32 v7, vcc, v17, v2, vcc
	global_load_ubyte v2, v[6:7], off
	s_add_u32 s18, s18, 1
	v_mov_b32_e32 v7, s20
	s_addc_u32 s19, s19, 0
	v_cmp_eq_u32_e32 vcc, s18, v0
	s_waitcnt vmcnt(0)
	v_and_b32_e32 v6, 0xffff, v2
	v_lshlrev_b64 v[6:7], s16, v[6:7]
	s_add_u32 s16, s16, 8
	s_addc_u32 s17, s17, 0
	v_or_b32_e32 v15, v7, v15
	s_or_b64 s[14:15], vcc, s[14:15]
	v_or_b32_e32 v14, v6, v14
	s_andn2_b64 exec, exec, s[14:15]
	s_cbranch_execnz .LBB0_14
; %bb.15:                               ;   in Loop: Header=BB0_3 Depth=1
	s_or_b64 exec, exec, s[14:15]
.LBB0_16:                               ;   in Loop: Header=BB0_3 Depth=1
	s_or_b64 exec, exec, s[12:13]
	v_mov_b32_e32 v6, v16
	v_mov_b32_e32 v7, v17
                                        ; implicit-def: $vgpr0
.LBB0_17:                               ;   in Loop: Header=BB0_3 Depth=1
	s_or_saveexec_b64 s[4:5], s[4:5]
	v_mov_b32_e32 v2, 0
	s_xor_b64 exec, exec, s[4:5]
	s_cbranch_execz .LBB0_19
; %bb.18:                               ;   in Loop: Header=BB0_3 Depth=1
	global_load_dwordx2 v[14:15], v[16:17], off
	v_add_u32_e32 v2, -8, v0
.LBB0_19:                               ;   in Loop: Header=BB0_3 Depth=1
	s_or_b64 exec, exec, s[4:5]
	v_add_co_u32_e64 v20, s[4:5], 8, v6
	v_cmp_gt_u32_e32 vcc, 8, v2
	v_addc_co_u32_e64 v21, s[4:5], 0, v7, s[4:5]
	s_and_saveexec_b64 s[4:5], vcc
	s_xor_b64 s[4:5], exec, s[4:5]
	s_cbranch_execz .LBB0_25
; %bb.20:                               ;   in Loop: Header=BB0_3 Depth=1
	v_mov_b32_e32 v16, 0
	v_mov_b32_e32 v17, 0
	v_cmp_ne_u32_e32 vcc, 0, v2
	s_and_saveexec_b64 s[12:13], vcc
	s_cbranch_execz .LBB0_24
; %bb.21:                               ;   in Loop: Header=BB0_3 Depth=1
	v_mov_b32_e32 v16, 0
	s_mov_b64 s[14:15], 0
	v_mov_b32_e32 v17, 0
	s_mov_b64 s[16:17], 0
	s_mov_b64 s[18:19], 0
.LBB0_22:                               ;   Parent Loop BB0_3 Depth=1
                                        ; =>  This Inner Loop Header: Depth=2
	v_mov_b32_e32 v0, s19
	v_add_co_u32_e32 v18, vcc, s18, v6
	v_addc_co_u32_e32 v19, vcc, v7, v0, vcc
	global_load_ubyte v0, v[18:19], off
	s_add_u32 s18, s18, 1
	v_mov_b32_e32 v19, s20
	s_addc_u32 s19, s19, 0
	v_cmp_eq_u32_e32 vcc, s18, v2
	s_waitcnt vmcnt(0)
	v_and_b32_e32 v18, 0xffff, v0
	v_lshlrev_b64 v[18:19], s16, v[18:19]
	s_add_u32 s16, s16, 8
	s_addc_u32 s17, s17, 0
	v_or_b32_e32 v17, v19, v17
	s_or_b64 s[14:15], vcc, s[14:15]
	v_or_b32_e32 v16, v18, v16
	s_andn2_b64 exec, exec, s[14:15]
	s_cbranch_execnz .LBB0_22
; %bb.23:                               ;   in Loop: Header=BB0_3 Depth=1
	s_or_b64 exec, exec, s[14:15]
.LBB0_24:                               ;   in Loop: Header=BB0_3 Depth=1
	s_or_b64 exec, exec, s[12:13]
	v_mov_b32_e32 v21, v7
	v_mov_b32_e32 v20, v6
                                        ; implicit-def: $vgpr2
.LBB0_25:                               ;   in Loop: Header=BB0_3 Depth=1
	s_or_saveexec_b64 s[4:5], s[4:5]
	v_mov_b32_e32 v0, 0
	s_xor_b64 exec, exec, s[4:5]
	s_cbranch_execz .LBB0_27
; %bb.26:                               ;   in Loop: Header=BB0_3 Depth=1
	global_load_dwordx2 v[16:17], v[6:7], off
	v_add_u32_e32 v0, -8, v2
.LBB0_27:                               ;   in Loop: Header=BB0_3 Depth=1
	s_or_b64 exec, exec, s[4:5]
	v_add_co_u32_e64 v6, s[4:5], 8, v20
	v_cmp_gt_u32_e32 vcc, 8, v0
	v_addc_co_u32_e64 v7, s[4:5], 0, v21, s[4:5]
                                        ; implicit-def: $vgpr18_vgpr19
	s_and_saveexec_b64 s[4:5], vcc
	s_xor_b64 s[4:5], exec, s[4:5]
	s_cbranch_execz .LBB0_33
; %bb.28:                               ;   in Loop: Header=BB0_3 Depth=1
	v_mov_b32_e32 v18, 0
	v_mov_b32_e32 v19, 0
	v_cmp_ne_u32_e32 vcc, 0, v0
	s_and_saveexec_b64 s[12:13], vcc
	s_cbranch_execz .LBB0_32
; %bb.29:                               ;   in Loop: Header=BB0_3 Depth=1
	v_mov_b32_e32 v18, 0
	s_mov_b64 s[14:15], 0
	v_mov_b32_e32 v19, 0
	s_mov_b64 s[16:17], 0
	s_mov_b64 s[18:19], 0
.LBB0_30:                               ;   Parent Loop BB0_3 Depth=1
                                        ; =>  This Inner Loop Header: Depth=2
	v_mov_b32_e32 v2, s19
	v_add_co_u32_e32 v6, vcc, s18, v20
	v_addc_co_u32_e32 v7, vcc, v21, v2, vcc
	global_load_ubyte v2, v[6:7], off
	s_add_u32 s18, s18, 1
	v_mov_b32_e32 v7, s20
	s_addc_u32 s19, s19, 0
	v_cmp_eq_u32_e32 vcc, s18, v0
	s_waitcnt vmcnt(0)
	v_and_b32_e32 v6, 0xffff, v2
	v_lshlrev_b64 v[6:7], s16, v[6:7]
	s_add_u32 s16, s16, 8
	s_addc_u32 s17, s17, 0
	v_or_b32_e32 v19, v7, v19
	s_or_b64 s[14:15], vcc, s[14:15]
	v_or_b32_e32 v18, v6, v18
	s_andn2_b64 exec, exec, s[14:15]
	s_cbranch_execnz .LBB0_30
; %bb.31:                               ;   in Loop: Header=BB0_3 Depth=1
	s_or_b64 exec, exec, s[14:15]
.LBB0_32:                               ;   in Loop: Header=BB0_3 Depth=1
	s_or_b64 exec, exec, s[12:13]
	v_mov_b32_e32 v6, v20
	v_mov_b32_e32 v7, v21
                                        ; implicit-def: $vgpr0
.LBB0_33:                               ;   in Loop: Header=BB0_3 Depth=1
	s_or_saveexec_b64 s[4:5], s[4:5]
	v_mov_b32_e32 v2, 0
	s_xor_b64 exec, exec, s[4:5]
	s_cbranch_execz .LBB0_35
; %bb.34:                               ;   in Loop: Header=BB0_3 Depth=1
	global_load_dwordx2 v[18:19], v[20:21], off
	v_add_u32_e32 v2, -8, v0
.LBB0_35:                               ;   in Loop: Header=BB0_3 Depth=1
	s_or_b64 exec, exec, s[4:5]
	v_add_co_u32_e64 v24, s[4:5], 8, v6
	v_cmp_gt_u32_e32 vcc, 8, v2
	v_addc_co_u32_e64 v25, s[4:5], 0, v7, s[4:5]
	s_and_saveexec_b64 s[4:5], vcc
	s_xor_b64 s[4:5], exec, s[4:5]
	s_cbranch_execz .LBB0_41
; %bb.36:                               ;   in Loop: Header=BB0_3 Depth=1
	v_mov_b32_e32 v20, 0
	v_mov_b32_e32 v21, 0
	v_cmp_ne_u32_e32 vcc, 0, v2
	s_and_saveexec_b64 s[12:13], vcc
	s_cbranch_execz .LBB0_40
; %bb.37:                               ;   in Loop: Header=BB0_3 Depth=1
	v_mov_b32_e32 v20, 0
	s_mov_b64 s[14:15], 0
	v_mov_b32_e32 v21, 0
	s_mov_b64 s[16:17], 0
	s_mov_b64 s[18:19], 0
.LBB0_38:                               ;   Parent Loop BB0_3 Depth=1
                                        ; =>  This Inner Loop Header: Depth=2
	v_mov_b32_e32 v0, s19
	v_add_co_u32_e32 v22, vcc, s18, v6
	v_addc_co_u32_e32 v23, vcc, v7, v0, vcc
	global_load_ubyte v0, v[22:23], off
	s_add_u32 s18, s18, 1
	v_mov_b32_e32 v23, s20
	s_addc_u32 s19, s19, 0
	v_cmp_eq_u32_e32 vcc, s18, v2
	s_waitcnt vmcnt(0)
	v_and_b32_e32 v22, 0xffff, v0
	v_lshlrev_b64 v[22:23], s16, v[22:23]
	s_add_u32 s16, s16, 8
	s_addc_u32 s17, s17, 0
	v_or_b32_e32 v21, v23, v21
	s_or_b64 s[14:15], vcc, s[14:15]
	v_or_b32_e32 v20, v22, v20
	s_andn2_b64 exec, exec, s[14:15]
	s_cbranch_execnz .LBB0_38
; %bb.39:                               ;   in Loop: Header=BB0_3 Depth=1
	s_or_b64 exec, exec, s[14:15]
.LBB0_40:                               ;   in Loop: Header=BB0_3 Depth=1
	s_or_b64 exec, exec, s[12:13]
	v_mov_b32_e32 v25, v7
	v_mov_b32_e32 v24, v6
                                        ; implicit-def: $vgpr2
.LBB0_41:                               ;   in Loop: Header=BB0_3 Depth=1
	s_or_saveexec_b64 s[4:5], s[4:5]
	v_mov_b32_e32 v0, 0
	s_xor_b64 exec, exec, s[4:5]
	s_cbranch_execz .LBB0_43
; %bb.42:                               ;   in Loop: Header=BB0_3 Depth=1
	global_load_dwordx2 v[20:21], v[6:7], off
	v_add_u32_e32 v0, -8, v2
.LBB0_43:                               ;   in Loop: Header=BB0_3 Depth=1
	s_or_b64 exec, exec, s[4:5]
	v_add_co_u32_e64 v6, s[4:5], 8, v24
	v_cmp_gt_u32_e32 vcc, 8, v0
	v_addc_co_u32_e64 v7, s[4:5], 0, v25, s[4:5]
                                        ; implicit-def: $vgpr22_vgpr23
	s_and_saveexec_b64 s[4:5], vcc
	s_xor_b64 s[4:5], exec, s[4:5]
	s_cbranch_execz .LBB0_49
; %bb.44:                               ;   in Loop: Header=BB0_3 Depth=1
	v_mov_b32_e32 v22, 0
	v_mov_b32_e32 v23, 0
	v_cmp_ne_u32_e32 vcc, 0, v0
	s_and_saveexec_b64 s[12:13], vcc
	s_cbranch_execz .LBB0_48
; %bb.45:                               ;   in Loop: Header=BB0_3 Depth=1
	v_mov_b32_e32 v22, 0
	s_mov_b64 s[14:15], 0
	v_mov_b32_e32 v23, 0
	s_mov_b64 s[16:17], 0
	s_mov_b64 s[18:19], 0
.LBB0_46:                               ;   Parent Loop BB0_3 Depth=1
                                        ; =>  This Inner Loop Header: Depth=2
	v_mov_b32_e32 v2, s19
	v_add_co_u32_e32 v6, vcc, s18, v24
	v_addc_co_u32_e32 v7, vcc, v25, v2, vcc
	global_load_ubyte v2, v[6:7], off
	s_add_u32 s18, s18, 1
	v_mov_b32_e32 v7, s20
	s_addc_u32 s19, s19, 0
	v_cmp_eq_u32_e32 vcc, s18, v0
	s_waitcnt vmcnt(0)
	v_and_b32_e32 v6, 0xffff, v2
	v_lshlrev_b64 v[6:7], s16, v[6:7]
	s_add_u32 s16, s16, 8
	s_addc_u32 s17, s17, 0
	v_or_b32_e32 v23, v7, v23
	s_or_b64 s[14:15], vcc, s[14:15]
	v_or_b32_e32 v22, v6, v22
	s_andn2_b64 exec, exec, s[14:15]
	s_cbranch_execnz .LBB0_46
; %bb.47:                               ;   in Loop: Header=BB0_3 Depth=1
	s_or_b64 exec, exec, s[14:15]
.LBB0_48:                               ;   in Loop: Header=BB0_3 Depth=1
	s_or_b64 exec, exec, s[12:13]
	v_mov_b32_e32 v6, v24
	v_mov_b32_e32 v7, v25
                                        ; implicit-def: $vgpr0
.LBB0_49:                               ;   in Loop: Header=BB0_3 Depth=1
	s_or_saveexec_b64 s[4:5], s[4:5]
	v_mov_b32_e32 v2, 0
	s_xor_b64 exec, exec, s[4:5]
	s_cbranch_execz .LBB0_51
; %bb.50:                               ;   in Loop: Header=BB0_3 Depth=1
	global_load_dwordx2 v[22:23], v[24:25], off
	v_add_u32_e32 v2, -8, v0
.LBB0_51:                               ;   in Loop: Header=BB0_3 Depth=1
	s_or_b64 exec, exec, s[4:5]
	v_cmp_gt_u32_e32 vcc, 8, v2
	s_and_saveexec_b64 s[4:5], vcc
	s_xor_b64 s[4:5], exec, s[4:5]
	s_cbranch_execz .LBB0_57
; %bb.52:                               ;   in Loop: Header=BB0_3 Depth=1
	v_mov_b32_e32 v24, 0
	v_mov_b32_e32 v25, 0
	v_cmp_ne_u32_e32 vcc, 0, v2
	s_and_saveexec_b64 s[12:13], vcc
	s_cbranch_execz .LBB0_56
; %bb.53:                               ;   in Loop: Header=BB0_3 Depth=1
	v_mov_b32_e32 v24, 0
	s_mov_b64 s[14:15], 0
	v_mov_b32_e32 v25, 0
	s_mov_b64 s[16:17], 0
.LBB0_54:                               ;   Parent Loop BB0_3 Depth=1
                                        ; =>  This Inner Loop Header: Depth=2
	global_load_ubyte v0, v[6:7], off
	v_mov_b32_e32 v27, s20
	v_add_co_u32_e32 v6, vcc, 1, v6
	v_add_u32_e32 v2, -1, v2
	v_addc_co_u32_e32 v7, vcc, 0, v7, vcc
	v_cmp_eq_u32_e32 vcc, 0, v2
	s_waitcnt vmcnt(0)
	v_and_b32_e32 v26, 0xffff, v0
	v_lshlrev_b64 v[26:27], s16, v[26:27]
	s_add_u32 s16, s16, 8
	s_addc_u32 s17, s17, 0
	v_or_b32_e32 v25, v27, v25
	s_or_b64 s[14:15], vcc, s[14:15]
	v_or_b32_e32 v24, v26, v24
	s_andn2_b64 exec, exec, s[14:15]
	s_cbranch_execnz .LBB0_54
; %bb.55:                               ;   in Loop: Header=BB0_3 Depth=1
	s_or_b64 exec, exec, s[14:15]
.LBB0_56:                               ;   in Loop: Header=BB0_3 Depth=1
	s_or_b64 exec, exec, s[12:13]
                                        ; implicit-def: $vgpr6_vgpr7
.LBB0_57:                               ;   in Loop: Header=BB0_3 Depth=1
	s_andn2_saveexec_b64 s[4:5], s[4:5]
	s_cbranch_execz .LBB0_59
; %bb.58:                               ;   in Loop: Header=BB0_3 Depth=1
	global_load_dwordx2 v[24:25], v[6:7], off
.LBB0_59:                               ;   in Loop: Header=BB0_3 Depth=1
	s_or_b64 exec, exec, s[4:5]
	v_readfirstlane_b32 s4, v39
	v_mov_b32_e32 v6, 0
	v_mov_b32_e32 v7, 0
	v_cmp_eq_u32_e64 s[4:5], s4, v39
	s_and_saveexec_b64 s[12:13], s[4:5]
	s_cbranch_execz .LBB0_65
; %bb.60:                               ;   in Loop: Header=BB0_3 Depth=1
	s_waitcnt lgkmcnt(0)
	global_load_dwordx2 v[28:29], v3, s[10:11] offset:24 glc
	s_waitcnt vmcnt(0)
	buffer_wbinvl1_vol
	global_load_dwordx2 v[6:7], v3, s[10:11] offset:40
	global_load_dwordx2 v[26:27], v3, s[10:11]
	s_waitcnt vmcnt(1)
	v_and_b32_e32 v0, v6, v28
	v_and_b32_e32 v2, v7, v29
	v_mul_lo_u32 v2, v2, 24
	v_mul_hi_u32 v6, v0, 24
	v_mul_lo_u32 v0, v0, 24
	v_add_u32_e32 v2, v6, v2
	s_waitcnt vmcnt(0)
	v_add_co_u32_e32 v6, vcc, v26, v0
	v_addc_co_u32_e32 v7, vcc, v27, v2, vcc
	global_load_dwordx2 v[26:27], v[6:7], off glc
	s_waitcnt vmcnt(0)
	global_atomic_cmpswap_x2 v[6:7], v3, v[26:29], s[10:11] offset:24 glc
	s_waitcnt vmcnt(0)
	buffer_wbinvl1_vol
	v_cmp_ne_u64_e32 vcc, v[6:7], v[28:29]
	s_and_saveexec_b64 s[14:15], vcc
	s_cbranch_execz .LBB0_64
; %bb.61:                               ;   in Loop: Header=BB0_3 Depth=1
	s_mov_b64 s[16:17], 0
.LBB0_62:                               ;   Parent Loop BB0_3 Depth=1
                                        ; =>  This Inner Loop Header: Depth=2
	s_sleep 1
	global_load_dwordx2 v[26:27], v3, s[10:11] offset:40
	global_load_dwordx2 v[34:35], v3, s[10:11]
	v_mov_b32_e32 v29, v7
	v_mov_b32_e32 v28, v6
	s_waitcnt vmcnt(1)
	v_and_b32_e32 v0, v26, v28
	s_waitcnt vmcnt(0)
	v_mad_u64_u32 v[6:7], s[18:19], v0, 24, v[34:35]
	v_and_b32_e32 v2, v27, v29
	v_mov_b32_e32 v0, v7
	v_mad_u64_u32 v[26:27], s[18:19], v2, 24, v[0:1]
	v_mov_b32_e32 v7, v26
	global_load_dwordx2 v[26:27], v[6:7], off glc
	s_waitcnt vmcnt(0)
	global_atomic_cmpswap_x2 v[6:7], v3, v[26:29], s[10:11] offset:24 glc
	s_waitcnt vmcnt(0)
	buffer_wbinvl1_vol
	v_cmp_eq_u64_e32 vcc, v[6:7], v[28:29]
	s_or_b64 s[16:17], vcc, s[16:17]
	s_andn2_b64 exec, exec, s[16:17]
	s_cbranch_execnz .LBB0_62
; %bb.63:                               ;   in Loop: Header=BB0_3 Depth=1
	s_or_b64 exec, exec, s[16:17]
.LBB0_64:                               ;   in Loop: Header=BB0_3 Depth=1
	s_or_b64 exec, exec, s[14:15]
.LBB0_65:                               ;   in Loop: Header=BB0_3 Depth=1
	s_or_b64 exec, exec, s[12:13]
	s_waitcnt lgkmcnt(0)
	global_load_dwordx2 v[34:35], v3, s[10:11] offset:40
	global_load_dwordx4 v[26:29], v3, s[10:11]
	v_readfirstlane_b32 s13, v7
	v_readfirstlane_b32 s12, v6
	s_mov_b64 s[14:15], exec
	s_waitcnt vmcnt(1)
	v_readfirstlane_b32 s16, v34
	v_readfirstlane_b32 s17, v35
	s_and_b64 s[16:17], s[16:17], s[12:13]
	s_mul_i32 s18, s17, 24
	s_mul_hi_u32 s19, s16, 24
	s_mul_i32 s22, s16, 24
	s_add_i32 s18, s19, s18
	v_mov_b32_e32 v0, s18
	s_waitcnt vmcnt(0)
	v_add_co_u32_e32 v34, vcc, s22, v26
	v_addc_co_u32_e32 v35, vcc, v27, v0, vcc
	s_and_saveexec_b64 s[18:19], s[4:5]
	s_cbranch_execz .LBB0_67
; %bb.66:                               ;   in Loop: Header=BB0_3 Depth=1
	v_mov_b32_e32 v6, s14
	v_mov_b32_e32 v7, s15
	global_store_dwordx4 v[34:35], v[6:9], off offset:8
.LBB0_67:                               ;   in Loop: Header=BB0_3 Depth=1
	s_or_b64 exec, exec, s[18:19]
	s_lshl_b64 s[14:15], s[16:17], 12
	v_mov_b32_e32 v2, s15
	v_add_co_u32_e32 v0, vcc, s14, v28
	v_addc_co_u32_e32 v28, vcc, v29, v2, vcc
	v_cmp_gt_u64_e32 vcc, 57, v[4:5]
	v_and_b32_e32 v7, 0xffffff1f, v10
	v_cndmask_b32_e32 v2, 0, v38, vcc
	v_lshl_add_u32 v6, v32, 2, 28
	v_or_b32_e32 v2, v7, v2
	v_and_or_b32 v10, v6, s21, v2
	v_lshlrev_b32_e32 v29, 6, v39
	v_readfirstlane_b32 s14, v0
	v_readfirstlane_b32 s15, v28
	s_nop 4
	global_store_dwordx4 v29, v[10:13], s[14:15]
	global_store_dwordx4 v29, v[14:17], s[14:15] offset:16
	global_store_dwordx4 v29, v[18:21], s[14:15] offset:32
	;; [unrolled: 1-line block ×3, first 2 shown]
	s_and_saveexec_b64 s[14:15], s[4:5]
	s_cbranch_execz .LBB0_75
; %bb.68:                               ;   in Loop: Header=BB0_3 Depth=1
	global_load_dwordx2 v[14:15], v3, s[10:11] offset:32 glc
	global_load_dwordx2 v[6:7], v3, s[10:11] offset:40
	v_mov_b32_e32 v12, s12
	v_mov_b32_e32 v13, s13
	s_waitcnt vmcnt(0)
	v_readfirstlane_b32 s16, v6
	v_readfirstlane_b32 s17, v7
	s_and_b64 s[16:17], s[16:17], s[12:13]
	s_mul_i32 s17, s17, 24
	s_mul_hi_u32 s18, s16, 24
	s_mul_i32 s16, s16, 24
	s_add_i32 s17, s18, s17
	v_mov_b32_e32 v2, s17
	v_add_co_u32_e32 v6, vcc, s16, v26
	v_addc_co_u32_e32 v7, vcc, v27, v2, vcc
	global_store_dwordx2 v[6:7], v[14:15], off
	s_waitcnt vmcnt(0)
	global_atomic_cmpswap_x2 v[12:13], v3, v[12:15], s[10:11] offset:32 glc
	s_waitcnt vmcnt(0)
	v_cmp_ne_u64_e32 vcc, v[12:13], v[14:15]
	s_and_saveexec_b64 s[16:17], vcc
	s_cbranch_execz .LBB0_71
; %bb.69:                               ;   in Loop: Header=BB0_3 Depth=1
	s_mov_b64 s[18:19], 0
.LBB0_70:                               ;   Parent Loop BB0_3 Depth=1
                                        ; =>  This Inner Loop Header: Depth=2
	s_sleep 1
	global_store_dwordx2 v[6:7], v[12:13], off
	v_mov_b32_e32 v10, s12
	v_mov_b32_e32 v11, s13
	s_waitcnt vmcnt(0)
	global_atomic_cmpswap_x2 v[10:11], v3, v[10:13], s[10:11] offset:32 glc
	s_waitcnt vmcnt(0)
	v_cmp_eq_u64_e32 vcc, v[10:11], v[12:13]
	v_mov_b32_e32 v13, v11
	s_or_b64 s[18:19], vcc, s[18:19]
	v_mov_b32_e32 v12, v10
	s_andn2_b64 exec, exec, s[18:19]
	s_cbranch_execnz .LBB0_70
.LBB0_71:                               ;   in Loop: Header=BB0_3 Depth=1
	s_or_b64 exec, exec, s[16:17]
	global_load_dwordx2 v[6:7], v3, s[10:11] offset:16
	s_mov_b64 s[18:19], exec
	v_mbcnt_lo_u32_b32 v2, s18, 0
	v_mbcnt_hi_u32_b32 v2, s19, v2
	v_cmp_eq_u32_e32 vcc, 0, v2
	s_and_saveexec_b64 s[16:17], vcc
	s_cbranch_execz .LBB0_73
; %bb.72:                               ;   in Loop: Header=BB0_3 Depth=1
	s_bcnt1_i32_b64 s18, s[18:19]
	v_mov_b32_e32 v2, s18
	s_waitcnt vmcnt(0)
	global_atomic_add_x2 v[6:7], v[2:3], off offset:8
.LBB0_73:                               ;   in Loop: Header=BB0_3 Depth=1
	s_or_b64 exec, exec, s[16:17]
	s_waitcnt vmcnt(0)
	global_load_dwordx2 v[10:11], v[6:7], off offset:16
	s_waitcnt vmcnt(0)
	v_cmp_eq_u64_e32 vcc, 0, v[10:11]
	s_cbranch_vccnz .LBB0_75
; %bb.74:                               ;   in Loop: Header=BB0_3 Depth=1
	global_load_dword v2, v[6:7], off offset:24
	s_waitcnt vmcnt(0)
	v_readfirstlane_b32 s16, v2
	s_and_b32 m0, s16, 0xffffff
	global_store_dwordx2 v[10:11], v[2:3], off
	s_sendmsg sendmsg(MSG_INTERRUPT)
.LBB0_75:                               ;   in Loop: Header=BB0_3 Depth=1
	s_or_b64 exec, exec, s[14:15]
	v_add_co_u32_e32 v6, vcc, v0, v29
	v_addc_co_u32_e32 v7, vcc, 0, v28, vcc
	s_branch .LBB0_79
.LBB0_76:                               ;   in Loop: Header=BB0_79 Depth=2
	s_or_b64 exec, exec, s[14:15]
	v_readfirstlane_b32 s14, v0
	s_cmp_eq_u32 s14, 0
	s_cbranch_scc1 .LBB0_78
; %bb.77:                               ;   in Loop: Header=BB0_79 Depth=2
	s_sleep 1
	s_cbranch_execnz .LBB0_79
	s_branch .LBB0_81
.LBB0_78:                               ;   in Loop: Header=BB0_3 Depth=1
	s_branch .LBB0_81
.LBB0_79:                               ;   Parent Loop BB0_3 Depth=1
                                        ; =>  This Inner Loop Header: Depth=2
	v_mov_b32_e32 v0, 1
	s_and_saveexec_b64 s[14:15], s[4:5]
	s_cbranch_execz .LBB0_76
; %bb.80:                               ;   in Loop: Header=BB0_79 Depth=2
	global_load_dword v0, v[34:35], off offset:20 glc
	s_waitcnt vmcnt(0)
	buffer_wbinvl1_vol
	v_and_b32_e32 v0, 1, v0
	s_branch .LBB0_76
.LBB0_81:                               ;   in Loop: Header=BB0_3 Depth=1
	global_load_dwordx4 v[10:13], v[6:7], off
	s_and_saveexec_b64 s[14:15], s[4:5]
	s_cbranch_execz .LBB0_2
; %bb.82:                               ;   in Loop: Header=BB0_3 Depth=1
	global_load_dwordx2 v[6:7], v3, s[10:11] offset:40
	global_load_dwordx2 v[16:17], v3, s[10:11] offset:24 glc
	global_load_dwordx2 v[12:13], v3, s[10:11]
	s_waitcnt vmcnt(2)
	v_readfirstlane_b32 s16, v6
	v_readfirstlane_b32 s17, v7
	s_add_u32 s18, s16, 1
	s_addc_u32 s19, s17, 0
	s_add_u32 s4, s18, s12
	s_addc_u32 s5, s19, s13
	s_cmp_eq_u64 s[4:5], 0
	s_cselect_b32 s5, s19, s5
	s_cselect_b32 s4, s18, s4
	s_and_b64 s[12:13], s[4:5], s[16:17]
	s_mul_i32 s13, s13, 24
	s_mul_hi_u32 s16, s12, 24
	s_mul_i32 s12, s12, 24
	s_add_i32 s13, s16, s13
	v_mov_b32_e32 v0, s13
	s_waitcnt vmcnt(0)
	v_add_co_u32_e32 v6, vcc, s12, v12
	v_addc_co_u32_e32 v7, vcc, v13, v0, vcc
	v_mov_b32_e32 v14, s4
	global_store_dwordx2 v[6:7], v[16:17], off
	v_mov_b32_e32 v15, s5
	s_waitcnt vmcnt(0)
	global_atomic_cmpswap_x2 v[14:15], v3, v[14:17], s[10:11] offset:24 glc
	s_waitcnt vmcnt(0)
	v_cmp_ne_u64_e32 vcc, v[14:15], v[16:17]
	s_and_b64 exec, exec, vcc
	s_cbranch_execz .LBB0_2
; %bb.83:                               ;   in Loop: Header=BB0_3 Depth=1
	s_mov_b64 s[12:13], 0
.LBB0_84:                               ;   Parent Loop BB0_3 Depth=1
                                        ; =>  This Inner Loop Header: Depth=2
	s_sleep 1
	global_store_dwordx2 v[6:7], v[14:15], off
	v_mov_b32_e32 v12, s4
	v_mov_b32_e32 v13, s5
	s_waitcnt vmcnt(0)
	global_atomic_cmpswap_x2 v[12:13], v3, v[12:15], s[10:11] offset:24 glc
	s_waitcnt vmcnt(0)
	v_cmp_eq_u64_e32 vcc, v[12:13], v[14:15]
	v_mov_b32_e32 v15, v13
	s_or_b64 s[12:13], vcc, s[12:13]
	v_mov_b32_e32 v14, v12
	s_andn2_b64 exec, exec, s[12:13]
	s_cbranch_execnz .LBB0_84
	s_branch .LBB0_2
.LBB0_85:
	s_or_b64 exec, exec, s[6:7]
	s_branch .LBB0_113
.LBB0_86:
	s_load_dwordx2 s[6:7], s[8:9], 0x50
	v_mbcnt_hi_u32_b32 v3, -1, v37
	v_readfirstlane_b32 s4, v3
	v_mov_b32_e32 v8, 0
	v_mov_b32_e32 v9, 0
	v_cmp_eq_u32_e64 s[4:5], s4, v3
	s_and_saveexec_b64 s[8:9], s[4:5]
	s_cbranch_execz .LBB0_92
; %bb.87:
	v_mov_b32_e32 v0, 0
	s_waitcnt lgkmcnt(0)
	global_load_dwordx2 v[6:7], v0, s[6:7] offset:24 glc
	s_waitcnt vmcnt(0)
	buffer_wbinvl1_vol
	global_load_dwordx2 v[4:5], v0, s[6:7] offset:40
	global_load_dwordx2 v[8:9], v0, s[6:7]
	s_waitcnt vmcnt(1)
	v_and_b32_e32 v2, v4, v6
	v_and_b32_e32 v4, v5, v7
	v_mul_lo_u32 v4, v4, 24
	v_mul_hi_u32 v5, v2, 24
	v_mul_lo_u32 v2, v2, 24
	v_add_u32_e32 v5, v5, v4
	s_waitcnt vmcnt(0)
	v_add_co_u32_e32 v4, vcc, v8, v2
	v_addc_co_u32_e32 v5, vcc, v9, v5, vcc
	global_load_dwordx2 v[4:5], v[4:5], off glc
	s_waitcnt vmcnt(0)
	global_atomic_cmpswap_x2 v[8:9], v0, v[4:7], s[6:7] offset:24 glc
	s_waitcnt vmcnt(0)
	buffer_wbinvl1_vol
	v_cmp_ne_u64_e32 vcc, v[8:9], v[6:7]
	s_and_saveexec_b64 s[10:11], vcc
	s_cbranch_execz .LBB0_91
; %bb.88:
	s_mov_b64 s[12:13], 0
.LBB0_89:                               ; =>This Inner Loop Header: Depth=1
	s_sleep 1
	global_load_dwordx2 v[4:5], v0, s[6:7] offset:40
	global_load_dwordx2 v[10:11], v0, s[6:7]
	v_mov_b32_e32 v6, v8
	v_mov_b32_e32 v7, v9
	s_waitcnt vmcnt(1)
	v_and_b32_e32 v2, v4, v6
	s_waitcnt vmcnt(0)
	v_mad_u64_u32 v[8:9], s[14:15], v2, 24, v[10:11]
	v_and_b32_e32 v4, v5, v7
	v_mov_b32_e32 v2, v9
	v_mad_u64_u32 v[4:5], s[14:15], v4, 24, v[2:3]
	v_mov_b32_e32 v9, v4
	global_load_dwordx2 v[4:5], v[8:9], off glc
	s_waitcnt vmcnt(0)
	global_atomic_cmpswap_x2 v[8:9], v0, v[4:7], s[6:7] offset:24 glc
	s_waitcnt vmcnt(0)
	buffer_wbinvl1_vol
	v_cmp_eq_u64_e32 vcc, v[8:9], v[6:7]
	s_or_b64 s[12:13], vcc, s[12:13]
	s_andn2_b64 exec, exec, s[12:13]
	s_cbranch_execnz .LBB0_89
; %bb.90:
	s_or_b64 exec, exec, s[12:13]
.LBB0_91:
	s_or_b64 exec, exec, s[10:11]
.LBB0_92:
	s_or_b64 exec, exec, s[8:9]
	v_mov_b32_e32 v2, 0
	s_waitcnt lgkmcnt(0)
	global_load_dwordx2 v[10:11], v2, s[6:7] offset:40
	global_load_dwordx4 v[4:7], v2, s[6:7]
	v_readfirstlane_b32 s9, v9
	v_readfirstlane_b32 s8, v8
	s_mov_b64 s[10:11], exec
	s_waitcnt vmcnt(1)
	v_readfirstlane_b32 s12, v10
	v_readfirstlane_b32 s13, v11
	s_and_b64 s[12:13], s[12:13], s[8:9]
	s_mul_i32 s14, s13, 24
	s_mul_hi_u32 s15, s12, 24
	s_mul_i32 s16, s12, 24
	s_add_i32 s14, s15, s14
	v_mov_b32_e32 v0, s14
	s_waitcnt vmcnt(0)
	v_add_co_u32_e32 v8, vcc, s16, v4
	v_addc_co_u32_e32 v9, vcc, v5, v0, vcc
	s_and_saveexec_b64 s[14:15], s[4:5]
	s_cbranch_execz .LBB0_94
; %bb.93:
	v_mov_b32_e32 v10, s10
	v_mov_b32_e32 v11, s11
	;; [unrolled: 1-line block ×4, first 2 shown]
	global_store_dwordx4 v[8:9], v[10:13], off offset:8
.LBB0_94:
	s_or_b64 exec, exec, s[14:15]
	s_lshl_b64 s[10:11], s[12:13], 12
	v_mov_b32_e32 v0, s11
	v_add_co_u32_e32 v6, vcc, s10, v6
	v_addc_co_u32_e32 v7, vcc, v7, v0, vcc
	s_movk_i32 s10, 0xff1f
	v_and_or_b32 v0, v36, s10, 32
	v_lshlrev_b32_e32 v10, 6, v3
	s_mov_b32 s12, 0
	v_mov_b32_e32 v3, v2
	v_readfirstlane_b32 s10, v6
	v_readfirstlane_b32 s11, v7
	s_mov_b32 s13, s12
	s_mov_b32 s14, s12
	;; [unrolled: 1-line block ×3, first 2 shown]
	s_nop 1
	global_store_dwordx4 v10, v[0:3], s[10:11]
	s_nop 0
	v_mov_b32_e32 v0, s12
	v_mov_b32_e32 v1, s13
	;; [unrolled: 1-line block ×4, first 2 shown]
	global_store_dwordx4 v10, v[0:3], s[10:11] offset:16
	global_store_dwordx4 v10, v[0:3], s[10:11] offset:32
	;; [unrolled: 1-line block ×3, first 2 shown]
	s_and_saveexec_b64 s[10:11], s[4:5]
	s_cbranch_execz .LBB0_102
; %bb.95:
	v_mov_b32_e32 v6, 0
	global_load_dwordx2 v[12:13], v6, s[6:7] offset:32 glc
	global_load_dwordx2 v[0:1], v6, s[6:7] offset:40
	v_mov_b32_e32 v10, s8
	v_mov_b32_e32 v11, s9
	s_waitcnt vmcnt(0)
	v_and_b32_e32 v0, s8, v0
	v_and_b32_e32 v1, s9, v1
	v_mul_lo_u32 v1, v1, 24
	v_mul_hi_u32 v2, v0, 24
	v_mul_lo_u32 v0, v0, 24
	v_add_u32_e32 v1, v2, v1
	v_add_co_u32_e32 v4, vcc, v4, v0
	v_addc_co_u32_e32 v5, vcc, v5, v1, vcc
	global_store_dwordx2 v[4:5], v[12:13], off
	s_waitcnt vmcnt(0)
	global_atomic_cmpswap_x2 v[2:3], v6, v[10:13], s[6:7] offset:32 glc
	s_waitcnt vmcnt(0)
	v_cmp_ne_u64_e32 vcc, v[2:3], v[12:13]
	s_and_saveexec_b64 s[12:13], vcc
	s_cbranch_execz .LBB0_98
; %bb.96:
	s_mov_b64 s[14:15], 0
.LBB0_97:                               ; =>This Inner Loop Header: Depth=1
	s_sleep 1
	global_store_dwordx2 v[4:5], v[2:3], off
	v_mov_b32_e32 v0, s8
	v_mov_b32_e32 v1, s9
	s_waitcnt vmcnt(0)
	global_atomic_cmpswap_x2 v[0:1], v6, v[0:3], s[6:7] offset:32 glc
	s_waitcnt vmcnt(0)
	v_cmp_eq_u64_e32 vcc, v[0:1], v[2:3]
	v_mov_b32_e32 v3, v1
	s_or_b64 s[14:15], vcc, s[14:15]
	v_mov_b32_e32 v2, v0
	s_andn2_b64 exec, exec, s[14:15]
	s_cbranch_execnz .LBB0_97
.LBB0_98:
	s_or_b64 exec, exec, s[12:13]
	v_mov_b32_e32 v3, 0
	global_load_dwordx2 v[0:1], v3, s[6:7] offset:16
	s_mov_b64 s[12:13], exec
	v_mbcnt_lo_u32_b32 v2, s12, 0
	v_mbcnt_hi_u32_b32 v2, s13, v2
	v_cmp_eq_u32_e32 vcc, 0, v2
	s_and_saveexec_b64 s[14:15], vcc
	s_cbranch_execz .LBB0_100
; %bb.99:
	s_bcnt1_i32_b64 s12, s[12:13]
	v_mov_b32_e32 v2, s12
	s_waitcnt vmcnt(0)
	global_atomic_add_x2 v[0:1], v[2:3], off offset:8
.LBB0_100:
	s_or_b64 exec, exec, s[14:15]
	s_waitcnt vmcnt(0)
	global_load_dwordx2 v[2:3], v[0:1], off offset:16
	s_waitcnt vmcnt(0)
	v_cmp_eq_u64_e32 vcc, 0, v[2:3]
	s_cbranch_vccnz .LBB0_102
; %bb.101:
	global_load_dword v0, v[0:1], off offset:24
	v_mov_b32_e32 v1, 0
	s_waitcnt vmcnt(0)
	v_readfirstlane_b32 s12, v0
	s_and_b32 m0, s12, 0xffffff
	global_store_dwordx2 v[2:3], v[0:1], off
	s_sendmsg sendmsg(MSG_INTERRUPT)
.LBB0_102:
	s_or_b64 exec, exec, s[10:11]
	s_branch .LBB0_106
.LBB0_103:                              ;   in Loop: Header=BB0_106 Depth=1
	s_or_b64 exec, exec, s[10:11]
	v_readfirstlane_b32 s10, v0
	s_cmp_eq_u32 s10, 0
	s_cbranch_scc1 .LBB0_105
; %bb.104:                              ;   in Loop: Header=BB0_106 Depth=1
	s_sleep 1
	s_cbranch_execnz .LBB0_106
	s_branch .LBB0_108
.LBB0_105:
	s_branch .LBB0_108
.LBB0_106:                              ; =>This Inner Loop Header: Depth=1
	v_mov_b32_e32 v0, 1
	s_and_saveexec_b64 s[10:11], s[4:5]
	s_cbranch_execz .LBB0_103
; %bb.107:                              ;   in Loop: Header=BB0_106 Depth=1
	global_load_dword v0, v[8:9], off offset:20 glc
	s_waitcnt vmcnt(0)
	buffer_wbinvl1_vol
	v_and_b32_e32 v0, 1, v0
	s_branch .LBB0_103
.LBB0_108:
	s_and_saveexec_b64 s[10:11], s[4:5]
	s_cbranch_execz .LBB0_111
; %bb.109:
	v_mov_b32_e32 v6, 0
	global_load_dwordx2 v[0:1], v6, s[6:7] offset:40
	global_load_dwordx2 v[9:10], v6, s[6:7] offset:24 glc
	global_load_dwordx2 v[2:3], v6, s[6:7]
	s_waitcnt vmcnt(2)
	v_readfirstlane_b32 s12, v0
	v_readfirstlane_b32 s13, v1
	s_add_u32 s14, s12, 1
	s_addc_u32 s15, s13, 0
	s_add_u32 s4, s14, s8
	s_addc_u32 s5, s15, s9
	s_cmp_eq_u64 s[4:5], 0
	s_cselect_b32 s5, s15, s5
	s_cselect_b32 s4, s14, s4
	s_and_b64 s[8:9], s[4:5], s[12:13]
	s_mul_i32 s9, s9, 24
	s_mul_hi_u32 s12, s8, 24
	s_mul_i32 s8, s8, 24
	s_add_i32 s9, s12, s9
	v_mov_b32_e32 v0, s9
	s_waitcnt vmcnt(0)
	v_add_co_u32_e32 v4, vcc, s8, v2
	v_addc_co_u32_e32 v5, vcc, v3, v0, vcc
	v_mov_b32_e32 v7, s4
	global_store_dwordx2 v[4:5], v[9:10], off
	v_mov_b32_e32 v8, s5
	s_waitcnt vmcnt(0)
	global_atomic_cmpswap_x2 v[2:3], v6, v[7:10], s[6:7] offset:24 glc
	s_mov_b64 s[8:9], 0
	s_waitcnt vmcnt(0)
	v_cmp_ne_u64_e32 vcc, v[2:3], v[9:10]
	s_and_b64 exec, exec, vcc
	s_cbranch_execz .LBB0_111
.LBB0_110:                              ; =>This Inner Loop Header: Depth=1
	s_sleep 1
	global_store_dwordx2 v[4:5], v[2:3], off
	v_mov_b32_e32 v0, s4
	v_mov_b32_e32 v1, s5
	s_waitcnt vmcnt(0)
	global_atomic_cmpswap_x2 v[0:1], v6, v[0:3], s[6:7] offset:24 glc
	s_waitcnt vmcnt(0)
	v_cmp_eq_u64_e32 vcc, v[0:1], v[2:3]
	v_mov_b32_e32 v3, v1
	s_or_b64 s[8:9], vcc, s[8:9]
	v_mov_b32_e32 v2, v0
	s_andn2_b64 exec, exec, s[8:9]
	s_cbranch_execnz .LBB0_110
.LBB0_111:
	s_or_b64 exec, exec, s[10:11]
	s_waitcnt vmcnt(0) lgkmcnt(0)
	s_setpc_b64 s[30:31]
.LBB0_112:
	s_cbranch_execnz .LBB0_86
.LBB0_113:
	s_waitcnt vmcnt(0) lgkmcnt(0)
	s_setpc_b64 s[30:31]
.Lfunc_end0:
	.size	__ockl_fprintf_append_string_n, .Lfunc_end0-__ockl_fprintf_append_string_n
                                        ; -- End function
	.set .L__ockl_fprintf_append_string_n.num_vgpr, 40
	.set .L__ockl_fprintf_append_string_n.num_agpr, 0
	.set .L__ockl_fprintf_append_string_n.numbered_sgpr, 32
	.set .L__ockl_fprintf_append_string_n.num_named_barrier, 0
	.set .L__ockl_fprintf_append_string_n.private_seg_size, 0
	.set .L__ockl_fprintf_append_string_n.uses_vcc, 1
	.set .L__ockl_fprintf_append_string_n.uses_flat_scratch, 0
	.set .L__ockl_fprintf_append_string_n.has_dyn_sized_stack, 0
	.set .L__ockl_fprintf_append_string_n.has_recursion, 0
	.set .L__ockl_fprintf_append_string_n.has_indirect_call, 0
	.section	.AMDGPU.csdata,"",@progbits
; Function info:
; codeLenInByte = 3900
; TotalNumSgprs: 36
; NumVgprs: 40
; ScratchSize: 0
; MemoryBound: 0
	.text
	.p2align	2                               ; -- Begin function __assert_fail
	.type	__assert_fail,@function
__assert_fail:                          ; @__assert_fail
; %bb.0:
	s_waitcnt vmcnt(0) expcnt(0) lgkmcnt(0)
	s_mov_b32 s25, s33
	s_mov_b32 s33, s32
	s_or_saveexec_b64 s[4:5], -1
	buffer_store_dword v40, off, s[0:3], s33 offset:48 ; 4-byte Folded Spill
	s_mov_b64 exec, s[4:5]
	v_writelane_b32 v40, s30, 0
	s_addk_i32 s32, 0x1000
	v_writelane_b32 v40, s31, 1
	v_mov_b32_e32 v8, 0
	s_getpc_b64 s[4:5]
	s_add_u32 s4, s4, __const.__assert_fail.fmt@rel32@lo+35
	s_addc_u32 s5, s5, __const.__assert_fail.fmt@rel32@hi+43
	v_mov_b32_e32 v5, v1
	v_mov_b32_e32 v4, v0
	global_load_dwordx4 v[0:3], v8, s[4:5]
	s_getpc_b64 s[16:17]
	s_add_u32 s16, s16, __const.__assert_fail.fmt@rel32@lo+4
	s_addc_u32 s17, s17, __const.__assert_fail.fmt@rel32@hi+12
	s_getpc_b64 s[18:19]
	s_add_u32 s18, s18, __const.__assert_fail.fmt@rel32@lo+20
	s_addc_u32 s19, s19, __const.__assert_fail.fmt@rel32@hi+28
	v_mbcnt_lo_u32_b32 v9, -1, 0
	s_load_dwordx4 s[4:7], s[16:17], 0x0
	s_load_dwordx4 s[12:15], s[18:19], 0x0
	s_load_dwordx2 s[10:11], s[8:9], 0x50
	v_mbcnt_hi_u32_b32 v34, -1, v9
	v_mov_b32_e32 v6, 0
	v_readfirstlane_b32 s16, v34
	v_mov_b32_e32 v7, 0
	s_waitcnt lgkmcnt(0)
	v_mov_b32_e32 v9, s7
	v_mov_b32_e32 v11, s5
	;; [unrolled: 1-line block ×3, first 2 shown]
	v_cmp_eq_u32_e64 s[4:5], s16, v34
	v_mov_b32_e32 v10, s6
	v_mov_b32_e32 v13, s15
	;; [unrolled: 1-line block ×5, first 2 shown]
	buffer_store_dword v9, off, s[0:3], s33 offset:12
	buffer_store_dword v10, off, s[0:3], s33 offset:8
	buffer_store_dword v11, off, s[0:3], s33 offset:4
	buffer_store_dword v12, off, s[0:3], s33
	buffer_store_dword v13, off, s[0:3], s33 offset:28
	buffer_store_dword v14, off, s[0:3], s33 offset:24
	;; [unrolled: 1-line block ×4, first 2 shown]
	s_waitcnt vmcnt(8)
	buffer_store_dword v3, off, s[0:3], s33 offset:43
	buffer_store_dword v2, off, s[0:3], s33 offset:39
	;; [unrolled: 1-line block ×4, first 2 shown]
	s_and_saveexec_b64 s[6:7], s[4:5]
	s_cbranch_execz .LBB1_6
; %bb.1:
	global_load_dwordx2 v[2:3], v8, s[10:11] offset:24 glc
	s_waitcnt vmcnt(0)
	buffer_wbinvl1_vol
	global_load_dwordx2 v[0:1], v8, s[10:11] offset:40
	global_load_dwordx2 v[6:7], v8, s[10:11]
	s_waitcnt vmcnt(1)
	v_and_b32_e32 v0, v0, v2
	v_and_b32_e32 v1, v1, v3
	v_mul_lo_u32 v1, v1, 24
	v_mul_hi_u32 v9, v0, 24
	v_mul_lo_u32 v0, v0, 24
	v_add_u32_e32 v1, v9, v1
	s_waitcnt vmcnt(0)
	v_add_co_u32_e32 v0, vcc, v6, v0
	v_addc_co_u32_e32 v1, vcc, v7, v1, vcc
	global_load_dwordx2 v[0:1], v[0:1], off glc
	s_waitcnt vmcnt(0)
	global_atomic_cmpswap_x2 v[6:7], v8, v[0:3], s[10:11] offset:24 glc
	s_waitcnt vmcnt(0)
	buffer_wbinvl1_vol
	v_cmp_ne_u64_e32 vcc, v[6:7], v[2:3]
	s_and_saveexec_b64 s[12:13], vcc
	s_cbranch_execz .LBB1_5
; %bb.2:
	s_mov_b64 s[14:15], 0
	v_mov_b32_e32 v0, 0
.LBB1_3:                                ; =>This Inner Loop Header: Depth=1
	s_sleep 1
	global_load_dwordx2 v[1:2], v0, s[10:11] offset:40
	global_load_dwordx2 v[9:10], v0, s[10:11]
	v_mov_b32_e32 v12, v7
	v_mov_b32_e32 v11, v6
	s_waitcnt vmcnt(1)
	v_and_b32_e32 v1, v1, v11
	s_waitcnt vmcnt(0)
	v_mad_u64_u32 v[6:7], s[16:17], v1, 24, v[9:10]
	v_and_b32_e32 v2, v2, v12
	v_mov_b32_e32 v1, v7
	v_mad_u64_u32 v[1:2], s[16:17], v2, 24, v[1:2]
	v_mov_b32_e32 v7, v1
	global_load_dwordx2 v[9:10], v[6:7], off glc
	s_waitcnt vmcnt(0)
	global_atomic_cmpswap_x2 v[6:7], v0, v[9:12], s[10:11] offset:24 glc
	s_waitcnt vmcnt(0)
	buffer_wbinvl1_vol
	v_cmp_eq_u64_e32 vcc, v[6:7], v[11:12]
	s_or_b64 s[14:15], vcc, s[14:15]
	s_andn2_b64 exec, exec, s[14:15]
	s_cbranch_execnz .LBB1_3
; %bb.4:
	s_or_b64 exec, exec, s[14:15]
.LBB1_5:
	s_or_b64 exec, exec, s[12:13]
.LBB1_6:
	s_or_b64 exec, exec, s[6:7]
	global_load_dwordx2 v[9:10], v8, s[10:11] offset:40
	global_load_dwordx4 v[0:3], v8, s[10:11]
	v_readfirstlane_b32 s7, v7
	v_readfirstlane_b32 s6, v6
	s_mov_b64 s[12:13], exec
	s_waitcnt vmcnt(1)
	v_readfirstlane_b32 s14, v9
	v_readfirstlane_b32 s15, v10
	s_and_b64 s[14:15], s[14:15], s[6:7]
	s_mul_i32 s16, s15, 24
	s_mul_hi_u32 s17, s14, 24
	s_mul_i32 s18, s14, 24
	s_add_i32 s16, s17, s16
	v_mov_b32_e32 v6, s16
	s_waitcnt vmcnt(0)
	v_add_co_u32_e32 v10, vcc, s18, v0
	v_addc_co_u32_e32 v11, vcc, v1, v6, vcc
	s_and_saveexec_b64 s[16:17], s[4:5]
	s_cbranch_execz .LBB1_8
; %bb.7:
	v_mov_b32_e32 v6, s12
	v_mov_b32_e32 v7, s13
	;; [unrolled: 1-line block ×4, first 2 shown]
	global_store_dwordx4 v[10:11], v[6:9], off offset:8
.LBB1_8:
	s_or_b64 exec, exec, s[16:17]
	s_lshl_b64 s[12:13], s[14:15], 12
	v_mov_b32_e32 v6, s13
	v_add_co_u32_e32 v2, vcc, s12, v2
	s_mov_b32 s12, 0
	v_addc_co_u32_e32 v3, vcc, v3, v6, vcc
	v_lshlrev_b32_e32 v35, 6, v34
	s_mov_b32 s15, s12
	v_mov_b32_e32 v7, 0
	v_add_co_u32_e32 v12, vcc, v2, v35
	s_mov_b32 s13, s12
	s_mov_b32 s14, s12
	v_mov_b32_e32 v17, s15
	v_addc_co_u32_e32 v13, vcc, 0, v3, vcc
	v_mov_b32_e32 v6, 33
	v_mov_b32_e32 v8, 1
	;; [unrolled: 1-line block ×3, first 2 shown]
	v_readfirstlane_b32 s16, v2
	v_readfirstlane_b32 s17, v3
	v_mov_b32_e32 v16, s14
	v_mov_b32_e32 v15, s13
	;; [unrolled: 1-line block ×3, first 2 shown]
	s_nop 1
	global_store_dwordx4 v35, v[6:9], s[16:17]
	global_store_dwordx4 v35, v[14:17], s[16:17] offset:16
	global_store_dwordx4 v35, v[14:17], s[16:17] offset:32
	;; [unrolled: 1-line block ×3, first 2 shown]
	s_and_saveexec_b64 s[12:13], s[4:5]
	s_cbranch_execz .LBB1_16
; %bb.9:
	global_load_dwordx2 v[16:17], v7, s[10:11] offset:32 glc
	global_load_dwordx2 v[2:3], v7, s[10:11] offset:40
	v_mov_b32_e32 v14, s6
	v_mov_b32_e32 v15, s7
	s_waitcnt vmcnt(0)
	v_and_b32_e32 v2, s6, v2
	v_and_b32_e32 v3, s7, v3
	v_mul_lo_u32 v3, v3, 24
	v_mul_hi_u32 v6, v2, 24
	v_mul_lo_u32 v2, v2, 24
	v_add_u32_e32 v3, v6, v3
	v_add_co_u32_e32 v8, vcc, v0, v2
	v_addc_co_u32_e32 v9, vcc, v1, v3, vcc
	global_store_dwordx2 v[8:9], v[16:17], off
	s_waitcnt vmcnt(0)
	global_atomic_cmpswap_x2 v[2:3], v7, v[14:17], s[10:11] offset:32 glc
	s_waitcnt vmcnt(0)
	v_cmp_ne_u64_e32 vcc, v[2:3], v[16:17]
	s_and_saveexec_b64 s[14:15], vcc
	s_cbranch_execz .LBB1_12
; %bb.10:
	s_mov_b64 s[16:17], 0
	v_mov_b32_e32 v6, 0
.LBB1_11:                               ; =>This Inner Loop Header: Depth=1
	s_sleep 1
	global_store_dwordx2 v[8:9], v[2:3], off
	v_mov_b32_e32 v0, s6
	v_mov_b32_e32 v1, s7
	s_waitcnt vmcnt(0)
	global_atomic_cmpswap_x2 v[0:1], v6, v[0:3], s[10:11] offset:32 glc
	s_waitcnt vmcnt(0)
	v_cmp_eq_u64_e32 vcc, v[0:1], v[2:3]
	v_mov_b32_e32 v3, v1
	s_or_b64 s[16:17], vcc, s[16:17]
	v_mov_b32_e32 v2, v0
	s_andn2_b64 exec, exec, s[16:17]
	s_cbranch_execnz .LBB1_11
.LBB1_12:
	s_or_b64 exec, exec, s[14:15]
	v_mov_b32_e32 v3, 0
	global_load_dwordx2 v[0:1], v3, s[10:11] offset:16
	s_mov_b64 s[14:15], exec
	v_mbcnt_lo_u32_b32 v2, s14, 0
	v_mbcnt_hi_u32_b32 v2, s15, v2
	v_cmp_eq_u32_e32 vcc, 0, v2
	s_and_saveexec_b64 s[16:17], vcc
	s_cbranch_execz .LBB1_14
; %bb.13:
	s_bcnt1_i32_b64 s14, s[14:15]
	v_mov_b32_e32 v2, s14
	s_waitcnt vmcnt(0)
	global_atomic_add_x2 v[0:1], v[2:3], off offset:8
.LBB1_14:
	s_or_b64 exec, exec, s[16:17]
	s_waitcnt vmcnt(0)
	global_load_dwordx2 v[2:3], v[0:1], off offset:16
	s_waitcnt vmcnt(0)
	v_cmp_eq_u64_e32 vcc, 0, v[2:3]
	s_cbranch_vccnz .LBB1_16
; %bb.15:
	global_load_dword v0, v[0:1], off offset:24
	v_mov_b32_e32 v1, 0
	s_waitcnt vmcnt(0)
	v_readfirstlane_b32 s14, v0
	s_and_b32 m0, s14, 0xffffff
	global_store_dwordx2 v[2:3], v[0:1], off
	s_sendmsg sendmsg(MSG_INTERRUPT)
.LBB1_16:
	s_or_b64 exec, exec, s[12:13]
	s_branch .LBB1_20
.LBB1_17:                               ;   in Loop: Header=BB1_20 Depth=1
	s_or_b64 exec, exec, s[12:13]
	v_readfirstlane_b32 s12, v0
	s_cmp_eq_u32 s12, 0
	s_cbranch_scc1 .LBB1_19
; %bb.18:                               ;   in Loop: Header=BB1_20 Depth=1
	s_sleep 1
	s_cbranch_execnz .LBB1_20
	s_branch .LBB1_22
.LBB1_19:
	s_branch .LBB1_22
.LBB1_20:                               ; =>This Inner Loop Header: Depth=1
	v_mov_b32_e32 v0, 1
	s_and_saveexec_b64 s[12:13], s[4:5]
	s_cbranch_execz .LBB1_17
; %bb.21:                               ;   in Loop: Header=BB1_20 Depth=1
	global_load_dword v0, v[10:11], off offset:20 glc
	s_waitcnt vmcnt(0)
	buffer_wbinvl1_vol
	v_and_b32_e32 v0, 1, v0
	s_branch .LBB1_17
.LBB1_22:
	global_load_dwordx2 v[6:7], v[12:13], off
	s_and_saveexec_b64 s[12:13], s[4:5]
	s_cbranch_execz .LBB1_25
; %bb.23:
	v_mov_b32_e32 v10, 0
	global_load_dwordx2 v[0:1], v10, s[10:11] offset:40
	global_load_dwordx2 v[13:14], v10, s[10:11] offset:24 glc
	global_load_dwordx2 v[2:3], v10, s[10:11]
	s_waitcnt vmcnt(2)
	v_readfirstlane_b32 s14, v0
	v_readfirstlane_b32 s15, v1
	s_add_u32 s16, s14, 1
	s_addc_u32 s17, s15, 0
	s_add_u32 s4, s16, s6
	s_addc_u32 s5, s17, s7
	s_cmp_eq_u64 s[4:5], 0
	s_cselect_b32 s5, s17, s5
	s_cselect_b32 s4, s16, s4
	s_and_b64 s[6:7], s[4:5], s[14:15]
	s_mul_i32 s7, s7, 24
	s_mul_hi_u32 s14, s6, 24
	s_mul_i32 s6, s6, 24
	s_add_i32 s7, s14, s7
	v_mov_b32_e32 v0, s7
	s_waitcnt vmcnt(0)
	v_add_co_u32_e32 v8, vcc, s6, v2
	v_addc_co_u32_e32 v9, vcc, v3, v0, vcc
	v_mov_b32_e32 v11, s4
	global_store_dwordx2 v[8:9], v[13:14], off
	v_mov_b32_e32 v12, s5
	s_waitcnt vmcnt(0)
	global_atomic_cmpswap_x2 v[2:3], v10, v[11:14], s[10:11] offset:24 glc
	s_mov_b64 s[6:7], 0
	s_waitcnt vmcnt(0)
	v_cmp_ne_u64_e32 vcc, v[2:3], v[13:14]
	s_and_b64 exec, exec, vcc
	s_cbranch_execz .LBB1_25
.LBB1_24:                               ; =>This Inner Loop Header: Depth=1
	s_sleep 1
	global_store_dwordx2 v[8:9], v[2:3], off
	v_mov_b32_e32 v0, s4
	v_mov_b32_e32 v1, s5
	s_waitcnt vmcnt(0)
	global_atomic_cmpswap_x2 v[0:1], v10, v[0:3], s[10:11] offset:24 glc
	s_waitcnt vmcnt(0)
	v_cmp_eq_u64_e32 vcc, v[0:1], v[2:3]
	v_mov_b32_e32 v3, v1
	s_or_b64 s[6:7], vcc, s[6:7]
	v_mov_b32_e32 v2, v0
	s_andn2_b64 exec, exec, s[6:7]
	s_cbranch_execnz .LBB1_24
.LBB1_25:
	s_or_b64 exec, exec, s[12:13]
	s_lshr_b32 s6, s33, 6
	s_mov_b64 s[4:5], 0
.LBB1_26:                               ; =>This Inner Loop Header: Depth=1
	v_mov_b32_e32 v0, s6
	buffer_load_ubyte v1, v0, s[0:3], 0 offen
	s_add_i32 s6, s6, 1
	v_mov_b32_e32 v0, s6
	s_waitcnt vmcnt(0)
	v_cmp_eq_u16_e32 vcc, 0, v1
	s_or_b64 s[4:5], vcc, s[4:5]
	s_andn2_b64 exec, exec, s[4:5]
	s_cbranch_execnz .LBB1_26
; %bb.27:
	s_or_b64 exec, exec, s[4:5]
	s_lshr_b32 s4, s33, 6
	s_cmp_lg_u32 s4, -1
	s_cbranch_scc0 .LBB1_112
; %bb.28:
	v_lshrrev_b32_e64 v1, 6, s33
	v_subrev_u32_e32 v28, v1, v0
	v_ashrrev_i32_e32 v29, 31, v28
	v_and_b32_e32 v36, 2, v6
	v_mov_b32_e32 v31, 0
	v_and_b32_e32 v0, -3, v6
	v_mov_b32_e32 v1, v7
	s_mov_b64 s[12:13], 0
	v_lshrrev_b32_e64 v37, 6, s33
	s_mov_b32 s20, 0
	s_movk_i32 s21, 0x1e0
	v_mov_b32_e32 v10, 2
	v_mov_b32_e32 v11, 1
	s_branch .LBB1_30
.LBB1_29:                               ;   in Loop: Header=BB1_30 Depth=1
	s_or_b64 exec, exec, s[6:7]
	v_sub_co_u32_e32 v28, vcc, v28, v38
	v_subb_co_u32_e32 v29, vcc, v29, v39, vcc
	v_cmp_eq_u64_e32 vcc, 0, v[28:29]
	v_add_u32_e32 v37, v37, v38
	s_or_b64 s[12:13], vcc, s[12:13]
	s_andn2_b64 exec, exec, s[12:13]
	s_cbranch_execz .LBB1_113
.LBB1_30:                               ; =>This Loop Header: Depth=1
                                        ;     Child Loop BB1_33 Depth 2
                                        ;     Child Loop BB1_41 Depth 2
	;; [unrolled: 1-line block ×11, first 2 shown]
	v_cmp_gt_u64_e32 vcc, 56, v[28:29]
	v_cmp_gt_u64_e64 s[4:5], 8, v[28:29]
	v_cndmask_b32_e32 v38, 56, v28, vcc
	v_add_u32_e32 v9, 8, v37
	s_and_saveexec_b64 s[6:7], s[4:5]
	s_xor_b64 s[6:7], exec, s[6:7]
	s_cbranch_execz .LBB1_36
; %bb.31:                               ;   in Loop: Header=BB1_30 Depth=1
	v_mov_b32_e32 v2, 0
	v_cmp_ne_u64_e64 s[4:5], 0, v[28:29]
	v_mov_b32_e32 v3, 0
	s_and_saveexec_b64 s[14:15], s[4:5]
	s_cbranch_execz .LBB1_35
; %bb.32:                               ;   in Loop: Header=BB1_30 Depth=1
	v_mov_b32_e32 v2, 0
	s_mov_b32 s22, 0
	s_mov_b64 s[16:17], 0
	v_mov_b32_e32 v3, 0
	s_mov_b64 s[18:19], 0
.LBB1_33:                               ;   Parent Loop BB1_30 Depth=1
                                        ; =>  This Inner Loop Header: Depth=2
	v_add_u32_e32 v8, s22, v37
	buffer_load_ubyte v8, v8, s[0:3], 0 offen
	v_mov_b32_e32 v9, s20
	s_add_i32 s22, s22, 1
	v_cmp_eq_u32_e64 s[4:5], s22, v38
	s_waitcnt vmcnt(0)
	v_and_b32_e32 v8, 0xffff, v8
	v_lshlrev_b64 v[8:9], s18, v[8:9]
	s_add_u32 s18, s18, 8
	s_addc_u32 s19, s19, 0
	v_or_b32_e32 v3, v9, v3
	s_or_b64 s[16:17], s[4:5], s[16:17]
	v_or_b32_e32 v2, v8, v2
	s_andn2_b64 exec, exec, s[16:17]
	s_cbranch_execnz .LBB1_33
; %bb.34:                               ;   in Loop: Header=BB1_30 Depth=1
	s_or_b64 exec, exec, s[16:17]
.LBB1_35:                               ;   in Loop: Header=BB1_30 Depth=1
	s_or_b64 exec, exec, s[14:15]
	v_mov_b32_e32 v9, v37
.LBB1_36:                               ;   in Loop: Header=BB1_30 Depth=1
	s_or_saveexec_b64 s[4:5], s[6:7]
	v_mov_b32_e32 v14, 0
	s_xor_b64 exec, exec, s[4:5]
	s_cbranch_execz .LBB1_38
; %bb.37:                               ;   in Loop: Header=BB1_30 Depth=1
	buffer_load_dword v2, v37, s[0:3], 0 offen
	buffer_load_dword v3, v37, s[0:3], 0 offen offset:4
	v_add_u32_e32 v14, -8, v38
.LBB1_38:                               ;   in Loop: Header=BB1_30 Depth=1
	s_or_b64 exec, exec, s[4:5]
	v_cmp_gt_u32_e64 s[4:5], 8, v14
	v_add_u32_e32 v8, 8, v9
                                        ; implicit-def: $vgpr12_vgpr13
	s_and_saveexec_b64 s[6:7], s[4:5]
	s_xor_b64 s[6:7], exec, s[6:7]
	s_cbranch_execz .LBB1_44
; %bb.39:                               ;   in Loop: Header=BB1_30 Depth=1
	v_mov_b32_e32 v12, 0
	v_mov_b32_e32 v13, 0
	v_cmp_ne_u32_e64 s[4:5], 0, v14
	s_and_saveexec_b64 s[14:15], s[4:5]
	s_cbranch_execz .LBB1_43
; %bb.40:                               ;   in Loop: Header=BB1_30 Depth=1
	v_mov_b32_e32 v12, 0
	s_mov_b32 s22, 0
	s_mov_b64 s[16:17], 0
	v_mov_b32_e32 v13, 0
	s_mov_b64 s[18:19], 0
.LBB1_41:                               ;   Parent Loop BB1_30 Depth=1
                                        ; =>  This Inner Loop Header: Depth=2
	v_add_u32_e32 v8, s22, v9
	buffer_load_ubyte v8, v8, s[0:3], 0 offen
	v_mov_b32_e32 v16, s20
	s_add_i32 s22, s22, 1
	v_cmp_eq_u32_e64 s[4:5], s22, v14
	s_waitcnt vmcnt(0)
	v_and_b32_e32 v15, 0xffff, v8
	v_lshlrev_b64 v[15:16], s18, v[15:16]
	s_add_u32 s18, s18, 8
	s_addc_u32 s19, s19, 0
	v_or_b32_e32 v13, v16, v13
	s_or_b64 s[16:17], s[4:5], s[16:17]
	v_or_b32_e32 v12, v15, v12
	s_andn2_b64 exec, exec, s[16:17]
	s_cbranch_execnz .LBB1_41
; %bb.42:                               ;   in Loop: Header=BB1_30 Depth=1
	s_or_b64 exec, exec, s[16:17]
.LBB1_43:                               ;   in Loop: Header=BB1_30 Depth=1
	s_or_b64 exec, exec, s[14:15]
	v_mov_b32_e32 v8, v9
                                        ; implicit-def: $vgpr14
.LBB1_44:                               ;   in Loop: Header=BB1_30 Depth=1
	s_or_saveexec_b64 s[4:5], s[6:7]
	v_mov_b32_e32 v16, 0
	s_xor_b64 exec, exec, s[4:5]
	s_cbranch_execz .LBB1_46
; %bb.45:                               ;   in Loop: Header=BB1_30 Depth=1
	buffer_load_dword v12, v9, s[0:3], 0 offen
	buffer_load_dword v13, v9, s[0:3], 0 offen offset:4
	v_add_u32_e32 v16, -8, v14
.LBB1_46:                               ;   in Loop: Header=BB1_30 Depth=1
	s_or_b64 exec, exec, s[4:5]
	v_cmp_gt_u32_e64 s[4:5], 8, v16
	v_add_u32_e32 v9, 8, v8
	s_and_saveexec_b64 s[6:7], s[4:5]
	s_xor_b64 s[6:7], exec, s[6:7]
	s_cbranch_execz .LBB1_52
; %bb.47:                               ;   in Loop: Header=BB1_30 Depth=1
	v_mov_b32_e32 v14, 0
	v_mov_b32_e32 v15, 0
	v_cmp_ne_u32_e64 s[4:5], 0, v16
	s_and_saveexec_b64 s[14:15], s[4:5]
	s_cbranch_execz .LBB1_51
; %bb.48:                               ;   in Loop: Header=BB1_30 Depth=1
	v_mov_b32_e32 v14, 0
	s_mov_b32 s22, 0
	s_mov_b64 s[16:17], 0
	v_mov_b32_e32 v15, 0
	s_mov_b64 s[18:19], 0
.LBB1_49:                               ;   Parent Loop BB1_30 Depth=1
                                        ; =>  This Inner Loop Header: Depth=2
	v_add_u32_e32 v9, s22, v8
	buffer_load_ubyte v9, v9, s[0:3], 0 offen
	v_mov_b32_e32 v18, s20
	s_add_i32 s22, s22, 1
	v_cmp_eq_u32_e64 s[4:5], s22, v16
	s_waitcnt vmcnt(0)
	v_and_b32_e32 v17, 0xffff, v9
	v_lshlrev_b64 v[17:18], s18, v[17:18]
	s_add_u32 s18, s18, 8
	s_addc_u32 s19, s19, 0
	v_or_b32_e32 v15, v18, v15
	s_or_b64 s[16:17], s[4:5], s[16:17]
	v_or_b32_e32 v14, v17, v14
	s_andn2_b64 exec, exec, s[16:17]
	s_cbranch_execnz .LBB1_49
; %bb.50:                               ;   in Loop: Header=BB1_30 Depth=1
	s_or_b64 exec, exec, s[16:17]
.LBB1_51:                               ;   in Loop: Header=BB1_30 Depth=1
	s_or_b64 exec, exec, s[14:15]
	v_mov_b32_e32 v9, v8
                                        ; implicit-def: $vgpr16
.LBB1_52:                               ;   in Loop: Header=BB1_30 Depth=1
	s_or_saveexec_b64 s[4:5], s[6:7]
	v_mov_b32_e32 v18, 0
	s_xor_b64 exec, exec, s[4:5]
	s_cbranch_execz .LBB1_54
; %bb.53:                               ;   in Loop: Header=BB1_30 Depth=1
	buffer_load_dword v14, v8, s[0:3], 0 offen
	buffer_load_dword v15, v8, s[0:3], 0 offen offset:4
	v_add_u32_e32 v18, -8, v16
.LBB1_54:                               ;   in Loop: Header=BB1_30 Depth=1
	s_or_b64 exec, exec, s[4:5]
	v_cmp_gt_u32_e64 s[4:5], 8, v18
	v_add_u32_e32 v8, 8, v9
                                        ; implicit-def: $vgpr16_vgpr17
	s_and_saveexec_b64 s[6:7], s[4:5]
	s_xor_b64 s[6:7], exec, s[6:7]
	s_cbranch_execz .LBB1_60
; %bb.55:                               ;   in Loop: Header=BB1_30 Depth=1
	v_mov_b32_e32 v16, 0
	v_mov_b32_e32 v17, 0
	v_cmp_ne_u32_e64 s[4:5], 0, v18
	s_and_saveexec_b64 s[14:15], s[4:5]
	s_cbranch_execz .LBB1_59
; %bb.56:                               ;   in Loop: Header=BB1_30 Depth=1
	v_mov_b32_e32 v16, 0
	s_mov_b32 s22, 0
	s_mov_b64 s[16:17], 0
	v_mov_b32_e32 v17, 0
	s_mov_b64 s[18:19], 0
.LBB1_57:                               ;   Parent Loop BB1_30 Depth=1
                                        ; =>  This Inner Loop Header: Depth=2
	v_add_u32_e32 v8, s22, v9
	buffer_load_ubyte v8, v8, s[0:3], 0 offen
	v_mov_b32_e32 v20, s20
	s_add_i32 s22, s22, 1
	v_cmp_eq_u32_e64 s[4:5], s22, v18
	s_waitcnt vmcnt(0)
	v_and_b32_e32 v19, 0xffff, v8
	v_lshlrev_b64 v[19:20], s18, v[19:20]
	s_add_u32 s18, s18, 8
	s_addc_u32 s19, s19, 0
	v_or_b32_e32 v17, v20, v17
	s_or_b64 s[16:17], s[4:5], s[16:17]
	v_or_b32_e32 v16, v19, v16
	s_andn2_b64 exec, exec, s[16:17]
	s_cbranch_execnz .LBB1_57
; %bb.58:                               ;   in Loop: Header=BB1_30 Depth=1
	s_or_b64 exec, exec, s[16:17]
.LBB1_59:                               ;   in Loop: Header=BB1_30 Depth=1
	s_or_b64 exec, exec, s[14:15]
	v_mov_b32_e32 v8, v9
                                        ; implicit-def: $vgpr18
.LBB1_60:                               ;   in Loop: Header=BB1_30 Depth=1
	s_or_saveexec_b64 s[4:5], s[6:7]
	v_mov_b32_e32 v20, 0
	s_xor_b64 exec, exec, s[4:5]
	s_cbranch_execz .LBB1_62
; %bb.61:                               ;   in Loop: Header=BB1_30 Depth=1
	buffer_load_dword v16, v9, s[0:3], 0 offen
	buffer_load_dword v17, v9, s[0:3], 0 offen offset:4
	v_add_u32_e32 v20, -8, v18
.LBB1_62:                               ;   in Loop: Header=BB1_30 Depth=1
	s_or_b64 exec, exec, s[4:5]
	v_cmp_gt_u32_e64 s[4:5], 8, v20
	v_add_u32_e32 v9, 8, v8
	s_and_saveexec_b64 s[6:7], s[4:5]
	s_xor_b64 s[6:7], exec, s[6:7]
	s_cbranch_execz .LBB1_68
; %bb.63:                               ;   in Loop: Header=BB1_30 Depth=1
	v_mov_b32_e32 v18, 0
	v_mov_b32_e32 v19, 0
	v_cmp_ne_u32_e64 s[4:5], 0, v20
	s_and_saveexec_b64 s[14:15], s[4:5]
	s_cbranch_execz .LBB1_67
; %bb.64:                               ;   in Loop: Header=BB1_30 Depth=1
	v_mov_b32_e32 v18, 0
	s_mov_b32 s22, 0
	s_mov_b64 s[16:17], 0
	v_mov_b32_e32 v19, 0
	s_mov_b64 s[18:19], 0
.LBB1_65:                               ;   Parent Loop BB1_30 Depth=1
                                        ; =>  This Inner Loop Header: Depth=2
	v_add_u32_e32 v9, s22, v8
	buffer_load_ubyte v9, v9, s[0:3], 0 offen
	v_mov_b32_e32 v22, s20
	s_add_i32 s22, s22, 1
	v_cmp_eq_u32_e64 s[4:5], s22, v20
	s_waitcnt vmcnt(0)
	v_and_b32_e32 v21, 0xffff, v9
	v_lshlrev_b64 v[21:22], s18, v[21:22]
	s_add_u32 s18, s18, 8
	s_addc_u32 s19, s19, 0
	v_or_b32_e32 v19, v22, v19
	s_or_b64 s[16:17], s[4:5], s[16:17]
	v_or_b32_e32 v18, v21, v18
	s_andn2_b64 exec, exec, s[16:17]
	s_cbranch_execnz .LBB1_65
; %bb.66:                               ;   in Loop: Header=BB1_30 Depth=1
	s_or_b64 exec, exec, s[16:17]
.LBB1_67:                               ;   in Loop: Header=BB1_30 Depth=1
	s_or_b64 exec, exec, s[14:15]
	v_mov_b32_e32 v9, v8
                                        ; implicit-def: $vgpr20
.LBB1_68:                               ;   in Loop: Header=BB1_30 Depth=1
	s_or_saveexec_b64 s[4:5], s[6:7]
	v_mov_b32_e32 v22, 0
	s_xor_b64 exec, exec, s[4:5]
	s_cbranch_execz .LBB1_70
; %bb.69:                               ;   in Loop: Header=BB1_30 Depth=1
	buffer_load_dword v18, v8, s[0:3], 0 offen
	buffer_load_dword v19, v8, s[0:3], 0 offen offset:4
	v_add_u32_e32 v22, -8, v20
.LBB1_70:                               ;   in Loop: Header=BB1_30 Depth=1
	s_or_b64 exec, exec, s[4:5]
	v_cmp_gt_u32_e64 s[4:5], 8, v22
	v_add_u32_e32 v8, 8, v9
                                        ; implicit-def: $vgpr20_vgpr21
	s_and_saveexec_b64 s[6:7], s[4:5]
	s_xor_b64 s[6:7], exec, s[6:7]
	s_cbranch_execz .LBB1_76
; %bb.71:                               ;   in Loop: Header=BB1_30 Depth=1
	v_mov_b32_e32 v20, 0
	v_mov_b32_e32 v21, 0
	v_cmp_ne_u32_e64 s[4:5], 0, v22
	s_and_saveexec_b64 s[14:15], s[4:5]
	s_cbranch_execz .LBB1_75
; %bb.72:                               ;   in Loop: Header=BB1_30 Depth=1
	v_mov_b32_e32 v20, 0
	s_mov_b32 s22, 0
	s_mov_b64 s[16:17], 0
	v_mov_b32_e32 v21, 0
	s_mov_b64 s[18:19], 0
.LBB1_73:                               ;   Parent Loop BB1_30 Depth=1
                                        ; =>  This Inner Loop Header: Depth=2
	v_add_u32_e32 v8, s22, v9
	buffer_load_ubyte v8, v8, s[0:3], 0 offen
	v_mov_b32_e32 v24, s20
	s_add_i32 s22, s22, 1
	v_cmp_eq_u32_e64 s[4:5], s22, v22
	s_waitcnt vmcnt(0)
	v_and_b32_e32 v23, 0xffff, v8
	v_lshlrev_b64 v[23:24], s18, v[23:24]
	s_add_u32 s18, s18, 8
	s_addc_u32 s19, s19, 0
	v_or_b32_e32 v21, v24, v21
	s_or_b64 s[16:17], s[4:5], s[16:17]
	v_or_b32_e32 v20, v23, v20
	s_andn2_b64 exec, exec, s[16:17]
	s_cbranch_execnz .LBB1_73
; %bb.74:                               ;   in Loop: Header=BB1_30 Depth=1
	s_or_b64 exec, exec, s[16:17]
.LBB1_75:                               ;   in Loop: Header=BB1_30 Depth=1
	s_or_b64 exec, exec, s[14:15]
	v_mov_b32_e32 v8, v9
                                        ; implicit-def: $vgpr22
.LBB1_76:                               ;   in Loop: Header=BB1_30 Depth=1
	s_or_saveexec_b64 s[4:5], s[6:7]
	v_mov_b32_e32 v24, 0
	s_xor_b64 exec, exec, s[4:5]
	s_cbranch_execz .LBB1_78
; %bb.77:                               ;   in Loop: Header=BB1_30 Depth=1
	buffer_load_dword v20, v9, s[0:3], 0 offen
	buffer_load_dword v21, v9, s[0:3], 0 offen offset:4
	v_add_u32_e32 v24, -8, v22
.LBB1_78:                               ;   in Loop: Header=BB1_30 Depth=1
	s_or_b64 exec, exec, s[4:5]
	v_cmp_gt_u32_e64 s[4:5], 8, v24
	s_and_saveexec_b64 s[6:7], s[4:5]
	s_xor_b64 s[6:7], exec, s[6:7]
	s_cbranch_execz .LBB1_84
; %bb.79:                               ;   in Loop: Header=BB1_30 Depth=1
	v_mov_b32_e32 v22, 0
	v_mov_b32_e32 v23, 0
	v_cmp_ne_u32_e64 s[4:5], 0, v24
	s_and_saveexec_b64 s[14:15], s[4:5]
	s_cbranch_execz .LBB1_83
; %bb.80:                               ;   in Loop: Header=BB1_30 Depth=1
	v_mov_b32_e32 v22, 0
	s_mov_b64 s[16:17], 0
	v_mov_b32_e32 v23, 0
	s_mov_b64 s[18:19], 0
.LBB1_81:                               ;   Parent Loop BB1_30 Depth=1
                                        ; =>  This Inner Loop Header: Depth=2
	buffer_load_ubyte v9, v8, s[0:3], 0 offen
	v_mov_b32_e32 v26, s20
	v_add_u32_e32 v24, -1, v24
	v_cmp_eq_u32_e64 s[4:5], 0, v24
	v_add_u32_e32 v8, 1, v8
	s_waitcnt vmcnt(0)
	v_and_b32_e32 v25, 0xffff, v9
	v_lshlrev_b64 v[25:26], s18, v[25:26]
	s_add_u32 s18, s18, 8
	s_addc_u32 s19, s19, 0
	v_or_b32_e32 v23, v26, v23
	s_or_b64 s[16:17], s[4:5], s[16:17]
	v_or_b32_e32 v22, v25, v22
	s_andn2_b64 exec, exec, s[16:17]
	s_cbranch_execnz .LBB1_81
; %bb.82:                               ;   in Loop: Header=BB1_30 Depth=1
	s_or_b64 exec, exec, s[16:17]
.LBB1_83:                               ;   in Loop: Header=BB1_30 Depth=1
	s_or_b64 exec, exec, s[14:15]
                                        ; implicit-def: $vgpr8
.LBB1_84:                               ;   in Loop: Header=BB1_30 Depth=1
	s_andn2_saveexec_b64 s[4:5], s[6:7]
	s_cbranch_execz .LBB1_86
; %bb.85:                               ;   in Loop: Header=BB1_30 Depth=1
	buffer_load_dword v22, v8, s[0:3], 0 offen
	buffer_load_dword v23, v8, s[0:3], 0 offen offset:4
.LBB1_86:                               ;   in Loop: Header=BB1_30 Depth=1
	s_or_b64 exec, exec, s[4:5]
	v_readfirstlane_b32 s4, v34
	v_mov_b32_e32 v8, 0
	v_mov_b32_e32 v9, 0
	v_cmp_eq_u32_e64 s[4:5], s4, v34
	s_and_saveexec_b64 s[14:15], s[4:5]
	s_cbranch_execz .LBB1_92
; %bb.87:                               ;   in Loop: Header=BB1_30 Depth=1
	global_load_dwordx2 v[26:27], v31, s[10:11] offset:24 glc
	s_waitcnt vmcnt(0)
	buffer_wbinvl1_vol
	global_load_dwordx2 v[8:9], v31, s[10:11] offset:40
	global_load_dwordx2 v[24:25], v31, s[10:11]
	s_waitcnt vmcnt(1)
	v_and_b32_e32 v8, v8, v26
	v_and_b32_e32 v9, v9, v27
	v_mul_lo_u32 v9, v9, 24
	v_mul_hi_u32 v30, v8, 24
	v_mul_lo_u32 v8, v8, 24
	v_add_u32_e32 v9, v30, v9
	s_waitcnt vmcnt(0)
	v_add_co_u32_e64 v8, s[6:7], v24, v8
	v_addc_co_u32_e64 v9, s[6:7], v25, v9, s[6:7]
	global_load_dwordx2 v[24:25], v[8:9], off glc
	s_waitcnt vmcnt(0)
	global_atomic_cmpswap_x2 v[8:9], v31, v[24:27], s[10:11] offset:24 glc
	s_waitcnt vmcnt(0)
	buffer_wbinvl1_vol
	v_cmp_ne_u64_e64 s[6:7], v[8:9], v[26:27]
	s_and_saveexec_b64 s[16:17], s[6:7]
	s_cbranch_execz .LBB1_91
; %bb.88:                               ;   in Loop: Header=BB1_30 Depth=1
	s_mov_b64 s[18:19], 0
.LBB1_89:                               ;   Parent Loop BB1_30 Depth=1
                                        ; =>  This Inner Loop Header: Depth=2
	s_sleep 1
	global_load_dwordx2 v[24:25], v31, s[10:11] offset:40
	global_load_dwordx2 v[32:33], v31, s[10:11]
	v_mov_b32_e32 v27, v9
	v_mov_b32_e32 v26, v8
	s_waitcnt vmcnt(1)
	v_and_b32_e32 v8, v24, v26
	s_waitcnt vmcnt(0)
	v_mad_u64_u32 v[8:9], s[6:7], v8, 24, v[32:33]
	v_and_b32_e32 v24, v25, v27
	v_mad_u64_u32 v[24:25], s[6:7], v24, 24, v[9:10]
	v_mov_b32_e32 v9, v24
	global_load_dwordx2 v[24:25], v[8:9], off glc
	s_waitcnt vmcnt(0)
	global_atomic_cmpswap_x2 v[8:9], v31, v[24:27], s[10:11] offset:24 glc
	s_waitcnt vmcnt(0)
	buffer_wbinvl1_vol
	v_cmp_eq_u64_e64 s[6:7], v[8:9], v[26:27]
	s_or_b64 s[18:19], s[6:7], s[18:19]
	s_andn2_b64 exec, exec, s[18:19]
	s_cbranch_execnz .LBB1_89
; %bb.90:                               ;   in Loop: Header=BB1_30 Depth=1
	s_or_b64 exec, exec, s[18:19]
.LBB1_91:                               ;   in Loop: Header=BB1_30 Depth=1
	s_or_b64 exec, exec, s[16:17]
.LBB1_92:                               ;   in Loop: Header=BB1_30 Depth=1
	s_or_b64 exec, exec, s[14:15]
	global_load_dwordx2 v[32:33], v31, s[10:11] offset:40
	global_load_dwordx4 v[24:27], v31, s[10:11]
	v_readfirstlane_b32 s15, v9
	v_readfirstlane_b32 s14, v8
	s_mov_b64 s[16:17], exec
	s_waitcnt vmcnt(1)
	v_readfirstlane_b32 s6, v32
	v_readfirstlane_b32 s7, v33
	s_and_b64 s[18:19], s[6:7], s[14:15]
	s_mul_i32 s6, s19, 24
	s_mul_hi_u32 s7, s18, 24
	s_mul_i32 s22, s18, 24
	s_add_i32 s6, s7, s6
	v_mov_b32_e32 v8, s6
	s_waitcnt vmcnt(0)
	v_add_co_u32_e64 v32, s[6:7], s22, v24
	v_addc_co_u32_e64 v33, s[6:7], v25, v8, s[6:7]
	s_and_saveexec_b64 s[6:7], s[4:5]
	s_cbranch_execz .LBB1_94
; %bb.93:                               ;   in Loop: Header=BB1_30 Depth=1
	v_mov_b32_e32 v8, s16
	v_mov_b32_e32 v9, s17
	global_store_dwordx4 v[32:33], v[8:11], off offset:8
.LBB1_94:                               ;   in Loop: Header=BB1_30 Depth=1
	s_or_b64 exec, exec, s[6:7]
	s_lshl_b64 s[6:7], s[18:19], 12
	v_cndmask_b32_e32 v39, 0, v29, vcc
	v_mov_b32_e32 v8, s7
	v_add_co_u32_e32 v26, vcc, s6, v26
	v_addc_co_u32_e32 v27, vcc, v27, v8, vcc
	v_cmp_gt_u64_e32 vcc, 57, v[28:29]
	v_and_b32_e32 v0, 0xffffff1f, v0
	v_cndmask_b32_e32 v8, 0, v36, vcc
	v_lshl_add_u32 v9, v38, 2, 28
	v_or_b32_e32 v0, v0, v8
	v_and_or_b32 v0, v9, s21, v0
	v_readfirstlane_b32 s6, v26
	v_readfirstlane_b32 s7, v27
	s_nop 4
	global_store_dwordx4 v35, v[0:3], s[6:7]
	global_store_dwordx4 v35, v[12:15], s[6:7] offset:16
	global_store_dwordx4 v35, v[16:19], s[6:7] offset:32
	global_store_dwordx4 v35, v[20:23], s[6:7] offset:48
	s_and_saveexec_b64 s[6:7], s[4:5]
	s_cbranch_execz .LBB1_102
; %bb.95:                               ;   in Loop: Header=BB1_30 Depth=1
	global_load_dwordx2 v[14:15], v31, s[10:11] offset:32 glc
	global_load_dwordx2 v[0:1], v31, s[10:11] offset:40
	v_mov_b32_e32 v12, s14
	v_mov_b32_e32 v13, s15
	s_waitcnt vmcnt(0)
	v_readfirstlane_b32 s16, v0
	v_readfirstlane_b32 s17, v1
	s_and_b64 s[16:17], s[16:17], s[14:15]
	s_mul_i32 s17, s17, 24
	s_mul_hi_u32 s18, s16, 24
	s_mul_i32 s16, s16, 24
	s_add_i32 s17, s18, s17
	v_mov_b32_e32 v0, s17
	v_add_co_u32_e32 v8, vcc, s16, v24
	v_addc_co_u32_e32 v9, vcc, v25, v0, vcc
	global_store_dwordx2 v[8:9], v[14:15], off
	s_waitcnt vmcnt(0)
	global_atomic_cmpswap_x2 v[2:3], v31, v[12:15], s[10:11] offset:32 glc
	s_waitcnt vmcnt(0)
	v_cmp_ne_u64_e32 vcc, v[2:3], v[14:15]
	s_and_saveexec_b64 s[16:17], vcc
	s_cbranch_execz .LBB1_98
; %bb.96:                               ;   in Loop: Header=BB1_30 Depth=1
	s_mov_b64 s[18:19], 0
.LBB1_97:                               ;   Parent Loop BB1_30 Depth=1
                                        ; =>  This Inner Loop Header: Depth=2
	s_sleep 1
	global_store_dwordx2 v[8:9], v[2:3], off
	v_mov_b32_e32 v0, s14
	v_mov_b32_e32 v1, s15
	s_waitcnt vmcnt(0)
	global_atomic_cmpswap_x2 v[0:1], v31, v[0:3], s[10:11] offset:32 glc
	s_waitcnt vmcnt(0)
	v_cmp_eq_u64_e32 vcc, v[0:1], v[2:3]
	v_mov_b32_e32 v3, v1
	s_or_b64 s[18:19], vcc, s[18:19]
	v_mov_b32_e32 v2, v0
	s_andn2_b64 exec, exec, s[18:19]
	s_cbranch_execnz .LBB1_97
.LBB1_98:                               ;   in Loop: Header=BB1_30 Depth=1
	s_or_b64 exec, exec, s[16:17]
	global_load_dwordx2 v[0:1], v31, s[10:11] offset:16
	s_mov_b64 s[18:19], exec
	v_mbcnt_lo_u32_b32 v2, s18, 0
	v_mbcnt_hi_u32_b32 v2, s19, v2
	v_cmp_eq_u32_e32 vcc, 0, v2
	s_and_saveexec_b64 s[16:17], vcc
	s_cbranch_execz .LBB1_100
; %bb.99:                               ;   in Loop: Header=BB1_30 Depth=1
	s_bcnt1_i32_b64 s18, s[18:19]
	v_mov_b32_e32 v30, s18
	s_waitcnt vmcnt(0)
	global_atomic_add_x2 v[0:1], v[30:31], off offset:8
.LBB1_100:                              ;   in Loop: Header=BB1_30 Depth=1
	s_or_b64 exec, exec, s[16:17]
	s_waitcnt vmcnt(0)
	global_load_dwordx2 v[2:3], v[0:1], off offset:16
	s_waitcnt vmcnt(0)
	v_cmp_eq_u64_e32 vcc, 0, v[2:3]
	s_cbranch_vccnz .LBB1_102
; %bb.101:                              ;   in Loop: Header=BB1_30 Depth=1
	global_load_dword v30, v[0:1], off offset:24
	s_waitcnt vmcnt(0)
	v_readfirstlane_b32 s16, v30
	s_and_b32 m0, s16, 0xffffff
	global_store_dwordx2 v[2:3], v[30:31], off
	s_sendmsg sendmsg(MSG_INTERRUPT)
.LBB1_102:                              ;   in Loop: Header=BB1_30 Depth=1
	s_or_b64 exec, exec, s[6:7]
	v_add_co_u32_e32 v0, vcc, v26, v35
	v_addc_co_u32_e32 v1, vcc, 0, v27, vcc
	s_branch .LBB1_106
.LBB1_103:                              ;   in Loop: Header=BB1_106 Depth=2
	s_or_b64 exec, exec, s[6:7]
	v_readfirstlane_b32 s6, v2
	s_cmp_eq_u32 s6, 0
	s_cbranch_scc1 .LBB1_105
; %bb.104:                              ;   in Loop: Header=BB1_106 Depth=2
	s_sleep 1
	s_cbranch_execnz .LBB1_106
	s_branch .LBB1_108
.LBB1_105:                              ;   in Loop: Header=BB1_30 Depth=1
	s_branch .LBB1_108
.LBB1_106:                              ;   Parent Loop BB1_30 Depth=1
                                        ; =>  This Inner Loop Header: Depth=2
	v_mov_b32_e32 v2, 1
	s_and_saveexec_b64 s[6:7], s[4:5]
	s_cbranch_execz .LBB1_103
; %bb.107:                              ;   in Loop: Header=BB1_106 Depth=2
	global_load_dword v2, v[32:33], off offset:20 glc
	s_waitcnt vmcnt(0)
	buffer_wbinvl1_vol
	v_and_b32_e32 v2, 1, v2
	s_branch .LBB1_103
.LBB1_108:                              ;   in Loop: Header=BB1_30 Depth=1
	global_load_dwordx2 v[0:1], v[0:1], off
	s_and_saveexec_b64 s[6:7], s[4:5]
	s_cbranch_execz .LBB1_29
; %bb.109:                              ;   in Loop: Header=BB1_30 Depth=1
	global_load_dwordx2 v[2:3], v31, s[10:11] offset:40
	global_load_dwordx2 v[16:17], v31, s[10:11] offset:24 glc
	global_load_dwordx2 v[8:9], v31, s[10:11]
	s_waitcnt vmcnt(2)
	v_readfirstlane_b32 s16, v2
	v_readfirstlane_b32 s17, v3
	s_add_u32 s18, s16, 1
	s_addc_u32 s19, s17, 0
	s_add_u32 s4, s18, s14
	s_addc_u32 s5, s19, s15
	s_cmp_eq_u64 s[4:5], 0
	s_cselect_b32 s5, s19, s5
	s_cselect_b32 s4, s18, s4
	s_and_b64 s[14:15], s[4:5], s[16:17]
	s_mul_i32 s15, s15, 24
	s_mul_hi_u32 s16, s14, 24
	s_mul_i32 s14, s14, 24
	s_add_i32 s15, s16, s15
	v_mov_b32_e32 v3, s15
	s_waitcnt vmcnt(0)
	v_add_co_u32_e32 v2, vcc, s14, v8
	v_addc_co_u32_e32 v3, vcc, v9, v3, vcc
	v_mov_b32_e32 v14, s4
	global_store_dwordx2 v[2:3], v[16:17], off
	v_mov_b32_e32 v15, s5
	s_waitcnt vmcnt(0)
	global_atomic_cmpswap_x2 v[14:15], v31, v[14:17], s[10:11] offset:24 glc
	s_waitcnt vmcnt(0)
	v_cmp_ne_u64_e32 vcc, v[14:15], v[16:17]
	s_and_b64 exec, exec, vcc
	s_cbranch_execz .LBB1_29
; %bb.110:                              ;   in Loop: Header=BB1_30 Depth=1
	s_mov_b64 s[14:15], 0
.LBB1_111:                              ;   Parent Loop BB1_30 Depth=1
                                        ; =>  This Inner Loop Header: Depth=2
	s_sleep 1
	global_store_dwordx2 v[2:3], v[14:15], off
	v_mov_b32_e32 v12, s4
	v_mov_b32_e32 v13, s5
	s_waitcnt vmcnt(0)
	global_atomic_cmpswap_x2 v[8:9], v31, v[12:15], s[10:11] offset:24 glc
	s_waitcnt vmcnt(0)
	v_cmp_eq_u64_e32 vcc, v[8:9], v[14:15]
	v_mov_b32_e32 v15, v9
	s_or_b64 s[14:15], vcc, s[14:15]
	v_mov_b32_e32 v14, v8
	s_andn2_b64 exec, exec, s[14:15]
	s_cbranch_execnz .LBB1_111
	s_branch .LBB1_29
.LBB1_112:
                                        ; implicit-def: $vgpr0_vgpr1
	s_cbranch_execnz .LBB1_114
	s_branch .LBB1_140
.LBB1_113:
	s_or_b64 exec, exec, s[12:13]
	s_branch .LBB1_140
.LBB1_114:
	v_readfirstlane_b32 s4, v34
	v_mov_b32_e32 v9, 0
	v_mov_b32_e32 v10, 0
	v_cmp_eq_u32_e64 s[4:5], s4, v34
	s_and_saveexec_b64 s[6:7], s[4:5]
	s_cbranch_execz .LBB1_120
; %bb.115:
	s_waitcnt vmcnt(0)
	v_mov_b32_e32 v0, 0
	global_load_dwordx2 v[11:12], v0, s[10:11] offset:24 glc
	s_waitcnt vmcnt(0)
	buffer_wbinvl1_vol
	global_load_dwordx2 v[1:2], v0, s[10:11] offset:40
	global_load_dwordx2 v[8:9], v0, s[10:11]
	s_waitcnt vmcnt(1)
	v_and_b32_e32 v1, v1, v11
	v_and_b32_e32 v2, v2, v12
	v_mul_lo_u32 v2, v2, 24
	v_mul_hi_u32 v3, v1, 24
	v_mul_lo_u32 v1, v1, 24
	v_add_u32_e32 v2, v3, v2
	s_waitcnt vmcnt(0)
	v_add_co_u32_e32 v1, vcc, v8, v1
	v_addc_co_u32_e32 v2, vcc, v9, v2, vcc
	global_load_dwordx2 v[9:10], v[1:2], off glc
	s_waitcnt vmcnt(0)
	global_atomic_cmpswap_x2 v[9:10], v0, v[9:12], s[10:11] offset:24 glc
	s_waitcnt vmcnt(0)
	buffer_wbinvl1_vol
	v_cmp_ne_u64_e32 vcc, v[9:10], v[11:12]
	s_and_saveexec_b64 s[12:13], vcc
	s_cbranch_execz .LBB1_119
; %bb.116:
	s_mov_b64 s[14:15], 0
.LBB1_117:                              ; =>This Inner Loop Header: Depth=1
	s_sleep 1
	global_load_dwordx2 v[1:2], v0, s[10:11] offset:40
	global_load_dwordx2 v[13:14], v0, s[10:11]
	v_mov_b32_e32 v12, v10
	v_mov_b32_e32 v11, v9
	s_waitcnt vmcnt(1)
	v_and_b32_e32 v1, v1, v11
	s_waitcnt vmcnt(0)
	v_mad_u64_u32 v[8:9], s[16:17], v1, 24, v[13:14]
	v_and_b32_e32 v2, v2, v12
	v_mov_b32_e32 v1, v9
	v_mad_u64_u32 v[1:2], s[16:17], v2, 24, v[1:2]
	v_mov_b32_e32 v9, v1
	global_load_dwordx2 v[9:10], v[8:9], off glc
	s_waitcnt vmcnt(0)
	global_atomic_cmpswap_x2 v[9:10], v0, v[9:12], s[10:11] offset:24 glc
	s_waitcnt vmcnt(0)
	buffer_wbinvl1_vol
	v_cmp_eq_u64_e32 vcc, v[9:10], v[11:12]
	s_or_b64 s[14:15], vcc, s[14:15]
	s_andn2_b64 exec, exec, s[14:15]
	s_cbranch_execnz .LBB1_117
; %bb.118:
	s_or_b64 exec, exec, s[14:15]
.LBB1_119:
	s_or_b64 exec, exec, s[12:13]
.LBB1_120:
	s_or_b64 exec, exec, s[6:7]
	v_mov_b32_e32 v8, 0
	global_load_dwordx2 v[11:12], v8, s[10:11] offset:40
	global_load_dwordx4 v[0:3], v8, s[10:11]
	v_readfirstlane_b32 s7, v10
	v_readfirstlane_b32 s6, v9
	s_mov_b64 s[12:13], exec
	s_waitcnt vmcnt(1)
	v_readfirstlane_b32 s14, v11
	v_readfirstlane_b32 s15, v12
	s_and_b64 s[14:15], s[14:15], s[6:7]
	s_mul_i32 s16, s15, 24
	s_mul_hi_u32 s17, s14, 24
	s_mul_i32 s18, s14, 24
	s_add_i32 s16, s17, s16
	v_mov_b32_e32 v9, s16
	s_waitcnt vmcnt(0)
	v_add_co_u32_e32 v10, vcc, s18, v0
	v_addc_co_u32_e32 v11, vcc, v1, v9, vcc
	s_and_saveexec_b64 s[16:17], s[4:5]
	s_cbranch_execz .LBB1_122
; %bb.121:
	v_mov_b32_e32 v12, s12
	v_mov_b32_e32 v13, s13
	;; [unrolled: 1-line block ×4, first 2 shown]
	global_store_dwordx4 v[10:11], v[12:15], off offset:8
.LBB1_122:
	s_or_b64 exec, exec, s[16:17]
	s_lshl_b64 s[12:13], s[14:15], 12
	v_mov_b32_e32 v9, s13
	v_add_co_u32_e32 v2, vcc, s12, v2
	v_addc_co_u32_e32 v3, vcc, v3, v9, vcc
	s_movk_i32 s12, 0xff1f
	v_and_or_b32 v6, v6, s12, 32
	s_mov_b32 s12, 0
	v_mov_b32_e32 v9, v8
	v_readfirstlane_b32 s16, v2
	v_readfirstlane_b32 s17, v3
	v_add_co_u32_e32 v12, vcc, v2, v35
	s_mov_b32 s13, s12
	s_mov_b32 s14, s12
	;; [unrolled: 1-line block ×3, first 2 shown]
	s_nop 0
	global_store_dwordx4 v35, v[6:9], s[16:17]
	v_addc_co_u32_e32 v13, vcc, 0, v3, vcc
	v_mov_b32_e32 v6, s12
	v_mov_b32_e32 v7, s13
	;; [unrolled: 1-line block ×4, first 2 shown]
	global_store_dwordx4 v35, v[6:9], s[16:17] offset:16
	global_store_dwordx4 v35, v[6:9], s[16:17] offset:32
	;; [unrolled: 1-line block ×3, first 2 shown]
	s_and_saveexec_b64 s[12:13], s[4:5]
	s_cbranch_execz .LBB1_130
; %bb.123:
	v_mov_b32_e32 v8, 0
	global_load_dwordx2 v[16:17], v8, s[10:11] offset:32 glc
	global_load_dwordx2 v[2:3], v8, s[10:11] offset:40
	v_mov_b32_e32 v14, s6
	v_mov_b32_e32 v15, s7
	s_waitcnt vmcnt(0)
	v_readfirstlane_b32 s14, v2
	v_readfirstlane_b32 s15, v3
	s_and_b64 s[14:15], s[14:15], s[6:7]
	s_mul_i32 s15, s15, 24
	s_mul_hi_u32 s16, s14, 24
	s_mul_i32 s14, s14, 24
	s_add_i32 s15, s16, s15
	v_mov_b32_e32 v2, s15
	v_add_co_u32_e32 v6, vcc, s14, v0
	v_addc_co_u32_e32 v7, vcc, v1, v2, vcc
	global_store_dwordx2 v[6:7], v[16:17], off
	s_waitcnt vmcnt(0)
	global_atomic_cmpswap_x2 v[2:3], v8, v[14:17], s[10:11] offset:32 glc
	s_waitcnt vmcnt(0)
	v_cmp_ne_u64_e32 vcc, v[2:3], v[16:17]
	s_and_saveexec_b64 s[14:15], vcc
	s_cbranch_execz .LBB1_126
; %bb.124:
	s_mov_b64 s[16:17], 0
.LBB1_125:                              ; =>This Inner Loop Header: Depth=1
	s_sleep 1
	global_store_dwordx2 v[6:7], v[2:3], off
	v_mov_b32_e32 v0, s6
	v_mov_b32_e32 v1, s7
	s_waitcnt vmcnt(0)
	global_atomic_cmpswap_x2 v[0:1], v8, v[0:3], s[10:11] offset:32 glc
	s_waitcnt vmcnt(0)
	v_cmp_eq_u64_e32 vcc, v[0:1], v[2:3]
	v_mov_b32_e32 v3, v1
	s_or_b64 s[16:17], vcc, s[16:17]
	v_mov_b32_e32 v2, v0
	s_andn2_b64 exec, exec, s[16:17]
	s_cbranch_execnz .LBB1_125
.LBB1_126:
	s_or_b64 exec, exec, s[14:15]
	v_mov_b32_e32 v3, 0
	global_load_dwordx2 v[0:1], v3, s[10:11] offset:16
	s_mov_b64 s[14:15], exec
	v_mbcnt_lo_u32_b32 v2, s14, 0
	v_mbcnt_hi_u32_b32 v2, s15, v2
	v_cmp_eq_u32_e32 vcc, 0, v2
	s_and_saveexec_b64 s[16:17], vcc
	s_cbranch_execz .LBB1_128
; %bb.127:
	s_bcnt1_i32_b64 s14, s[14:15]
	v_mov_b32_e32 v2, s14
	s_waitcnt vmcnt(0)
	global_atomic_add_x2 v[0:1], v[2:3], off offset:8
.LBB1_128:
	s_or_b64 exec, exec, s[16:17]
	s_waitcnt vmcnt(0)
	global_load_dwordx2 v[2:3], v[0:1], off offset:16
	s_waitcnt vmcnt(0)
	v_cmp_eq_u64_e32 vcc, 0, v[2:3]
	s_cbranch_vccnz .LBB1_130
; %bb.129:
	global_load_dword v0, v[0:1], off offset:24
	v_mov_b32_e32 v1, 0
	s_waitcnt vmcnt(0)
	v_readfirstlane_b32 s14, v0
	s_and_b32 m0, s14, 0xffffff
	global_store_dwordx2 v[2:3], v[0:1], off
	s_sendmsg sendmsg(MSG_INTERRUPT)
.LBB1_130:
	s_or_b64 exec, exec, s[12:13]
	s_branch .LBB1_134
.LBB1_131:                              ;   in Loop: Header=BB1_134 Depth=1
	s_or_b64 exec, exec, s[12:13]
	v_readfirstlane_b32 s12, v0
	s_cmp_eq_u32 s12, 0
	s_cbranch_scc1 .LBB1_133
; %bb.132:                              ;   in Loop: Header=BB1_134 Depth=1
	s_sleep 1
	s_cbranch_execnz .LBB1_134
	s_branch .LBB1_136
.LBB1_133:
	s_branch .LBB1_136
.LBB1_134:                              ; =>This Inner Loop Header: Depth=1
	v_mov_b32_e32 v0, 1
	s_and_saveexec_b64 s[12:13], s[4:5]
	s_cbranch_execz .LBB1_131
; %bb.135:                              ;   in Loop: Header=BB1_134 Depth=1
	global_load_dword v0, v[10:11], off offset:20 glc
	s_waitcnt vmcnt(0)
	buffer_wbinvl1_vol
	v_and_b32_e32 v0, 1, v0
	s_branch .LBB1_131
.LBB1_136:
	global_load_dwordx2 v[0:1], v[12:13], off
	s_and_saveexec_b64 s[12:13], s[4:5]
	s_cbranch_execz .LBB1_139
; %bb.137:
	v_mov_b32_e32 v10, 0
	global_load_dwordx2 v[2:3], v10, s[10:11] offset:40
	global_load_dwordx2 v[13:14], v10, s[10:11] offset:24 glc
	global_load_dwordx2 v[6:7], v10, s[10:11]
	s_waitcnt vmcnt(2)
	v_readfirstlane_b32 s14, v2
	v_readfirstlane_b32 s15, v3
	s_add_u32 s16, s14, 1
	s_addc_u32 s17, s15, 0
	s_add_u32 s4, s16, s6
	s_addc_u32 s5, s17, s7
	s_cmp_eq_u64 s[4:5], 0
	s_cselect_b32 s5, s17, s5
	s_cselect_b32 s4, s16, s4
	s_and_b64 s[6:7], s[4:5], s[14:15]
	s_mul_i32 s7, s7, 24
	s_mul_hi_u32 s14, s6, 24
	s_mul_i32 s6, s6, 24
	s_add_i32 s7, s14, s7
	v_mov_b32_e32 v3, s7
	s_waitcnt vmcnt(0)
	v_add_co_u32_e32 v2, vcc, s6, v6
	v_addc_co_u32_e32 v3, vcc, v7, v3, vcc
	v_mov_b32_e32 v11, s4
	global_store_dwordx2 v[2:3], v[13:14], off
	v_mov_b32_e32 v12, s5
	s_waitcnt vmcnt(0)
	global_atomic_cmpswap_x2 v[8:9], v10, v[11:14], s[10:11] offset:24 glc
	s_mov_b64 s[6:7], 0
	s_waitcnt vmcnt(0)
	v_cmp_ne_u64_e32 vcc, v[8:9], v[13:14]
	s_and_b64 exec, exec, vcc
	s_cbranch_execz .LBB1_139
.LBB1_138:                              ; =>This Inner Loop Header: Depth=1
	s_sleep 1
	global_store_dwordx2 v[2:3], v[8:9], off
	v_mov_b32_e32 v6, s4
	v_mov_b32_e32 v7, s5
	s_waitcnt vmcnt(0)
	global_atomic_cmpswap_x2 v[6:7], v10, v[6:9], s[10:11] offset:24 glc
	s_waitcnt vmcnt(0)
	v_cmp_eq_u64_e32 vcc, v[6:7], v[8:9]
	v_mov_b32_e32 v9, v7
	s_or_b64 s[6:7], vcc, s[6:7]
	v_mov_b32_e32 v8, v6
	s_andn2_b64 exec, exec, s[6:7]
	s_cbranch_execnz .LBB1_138
.LBB1_139:
	s_or_b64 exec, exec, s[12:13]
.LBB1_140:
	s_getpc_b64 s[6:7]
	s_add_u32 s6, s6, .str.4@rel32@lo+4
	s_addc_u32 s7, s7, .str.4@rel32@hi+12
	s_cmp_lg_u64 s[6:7], 0
	s_cbranch_scc0 .LBB1_225
; %bb.141:
	s_getpc_b64 s[4:5]
	s_add_u32 s4, s4, .str.4@rel32@lo+80
	s_addc_u32 s5, s5, .str.4@rel32@hi+88
	s_sub_i32 s12, s4, s6
	s_ashr_i32 s13, s12, 31
	s_waitcnt vmcnt(0)
	v_and_b32_e32 v32, 2, v0
	v_mov_b32_e32 v3, 0
	v_and_b32_e32 v6, -3, v0
	v_mov_b32_e32 v7, v1
	v_mov_b32_e32 v12, 2
	;; [unrolled: 1-line block ×3, first 2 shown]
	s_branch .LBB1_143
.LBB1_142:                              ;   in Loop: Header=BB1_143 Depth=1
	s_or_b64 exec, exec, s[18:19]
	s_sub_u32 s12, s12, s14
	s_subb_u32 s13, s13, s15
	s_add_u32 s6, s6, s14
	s_addc_u32 s7, s7, s15
	s_cmp_lg_u64 s[12:13], 0
	s_cbranch_scc0 .LBB1_226
.LBB1_143:                              ; =>This Loop Header: Depth=1
                                        ;     Child Loop BB1_146 Depth 2
                                        ;     Child Loop BB1_154 Depth 2
                                        ;     Child Loop BB1_162 Depth 2
                                        ;     Child Loop BB1_170 Depth 2
                                        ;     Child Loop BB1_178 Depth 2
                                        ;     Child Loop BB1_186 Depth 2
                                        ;     Child Loop BB1_194 Depth 2
                                        ;     Child Loop BB1_202 Depth 2
                                        ;     Child Loop BB1_210 Depth 2
                                        ;     Child Loop BB1_219 Depth 2
                                        ;     Child Loop BB1_224 Depth 2
	v_cmp_lt_u64_e64 s[4:5], s[12:13], 56
	v_cmp_gt_u64_e64 s[16:17], s[12:13], 7
	s_and_b64 s[4:5], s[4:5], exec
	s_cselect_b32 s15, s13, 0
	s_cselect_b32 s14, s12, 56
	s_add_u32 s4, s6, 8
	s_addc_u32 s5, s7, 0
	s_and_b64 vcc, exec, s[16:17]
	s_cbranch_vccnz .LBB1_147
; %bb.144:                              ;   in Loop: Header=BB1_143 Depth=1
	s_cmp_eq_u64 s[12:13], 0
	s_cbranch_scc1 .LBB1_148
; %bb.145:                              ;   in Loop: Header=BB1_143 Depth=1
	v_mov_b32_e32 v8, 0
	s_lshl_b64 s[4:5], s[14:15], 3
	s_mov_b64 s[16:17], 0
	v_mov_b32_e32 v9, 0
	s_mov_b64 s[18:19], s[6:7]
.LBB1_146:                              ;   Parent Loop BB1_143 Depth=1
                                        ; =>  This Inner Loop Header: Depth=2
	global_load_ubyte v2, v3, s[18:19]
	s_waitcnt vmcnt(0)
	v_and_b32_e32 v2, 0xffff, v2
	v_lshlrev_b64 v[10:11], s16, v[2:3]
	s_add_u32 s16, s16, 8
	s_addc_u32 s17, s17, 0
	s_add_u32 s18, s18, 1
	s_addc_u32 s19, s19, 0
	v_or_b32_e32 v8, v10, v8
	s_cmp_lg_u32 s4, s16
	v_or_b32_e32 v9, v11, v9
	s_cbranch_scc1 .LBB1_146
	s_branch .LBB1_149
.LBB1_147:                              ;   in Loop: Header=BB1_143 Depth=1
	s_mov_b32 s20, 0
	s_branch .LBB1_150
.LBB1_148:                              ;   in Loop: Header=BB1_143 Depth=1
	v_mov_b32_e32 v8, 0
	v_mov_b32_e32 v9, 0
.LBB1_149:                              ;   in Loop: Header=BB1_143 Depth=1
	s_mov_b64 s[4:5], s[6:7]
	s_mov_b32 s20, 0
	s_cbranch_execnz .LBB1_151
.LBB1_150:                              ;   in Loop: Header=BB1_143 Depth=1
	global_load_dwordx2 v[8:9], v3, s[6:7]
	s_add_i32 s20, s14, -8
.LBB1_151:                              ;   in Loop: Header=BB1_143 Depth=1
	s_add_u32 s16, s4, 8
	s_addc_u32 s17, s5, 0
	s_cmp_gt_u32 s20, 7
	s_cbranch_scc1 .LBB1_155
; %bb.152:                              ;   in Loop: Header=BB1_143 Depth=1
	s_cmp_eq_u32 s20, 0
	s_cbranch_scc1 .LBB1_156
; %bb.153:                              ;   in Loop: Header=BB1_143 Depth=1
	v_mov_b32_e32 v14, 0
	s_mov_b64 s[16:17], 0
	v_mov_b32_e32 v15, 0
	s_mov_b64 s[18:19], 0
.LBB1_154:                              ;   Parent Loop BB1_143 Depth=1
                                        ; =>  This Inner Loop Header: Depth=2
	s_add_u32 s22, s4, s18
	s_addc_u32 s23, s5, s19
	global_load_ubyte v2, v3, s[22:23]
	s_add_u32 s18, s18, 1
	s_addc_u32 s19, s19, 0
	s_waitcnt vmcnt(0)
	v_and_b32_e32 v2, 0xffff, v2
	v_lshlrev_b64 v[10:11], s16, v[2:3]
	s_add_u32 s16, s16, 8
	s_addc_u32 s17, s17, 0
	v_or_b32_e32 v14, v10, v14
	s_cmp_lg_u32 s20, s18
	v_or_b32_e32 v15, v11, v15
	s_cbranch_scc1 .LBB1_154
	s_branch .LBB1_157
.LBB1_155:                              ;   in Loop: Header=BB1_143 Depth=1
                                        ; implicit-def: $vgpr14_vgpr15
	s_mov_b32 s21, 0
	s_branch .LBB1_158
.LBB1_156:                              ;   in Loop: Header=BB1_143 Depth=1
	v_mov_b32_e32 v14, 0
	v_mov_b32_e32 v15, 0
.LBB1_157:                              ;   in Loop: Header=BB1_143 Depth=1
	s_mov_b64 s[16:17], s[4:5]
	s_mov_b32 s21, 0
	s_cbranch_execnz .LBB1_159
.LBB1_158:                              ;   in Loop: Header=BB1_143 Depth=1
	global_load_dwordx2 v[14:15], v3, s[4:5]
	s_add_i32 s21, s20, -8
.LBB1_159:                              ;   in Loop: Header=BB1_143 Depth=1
	s_add_u32 s4, s16, 8
	s_addc_u32 s5, s17, 0
	s_cmp_gt_u32 s21, 7
	s_cbranch_scc1 .LBB1_163
; %bb.160:                              ;   in Loop: Header=BB1_143 Depth=1
	s_cmp_eq_u32 s21, 0
	s_cbranch_scc1 .LBB1_164
; %bb.161:                              ;   in Loop: Header=BB1_143 Depth=1
	v_mov_b32_e32 v16, 0
	s_mov_b64 s[4:5], 0
	v_mov_b32_e32 v17, 0
	s_mov_b64 s[18:19], 0
.LBB1_162:                              ;   Parent Loop BB1_143 Depth=1
                                        ; =>  This Inner Loop Header: Depth=2
	s_add_u32 s22, s16, s18
	s_addc_u32 s23, s17, s19
	global_load_ubyte v2, v3, s[22:23]
	s_add_u32 s18, s18, 1
	s_addc_u32 s19, s19, 0
	s_waitcnt vmcnt(0)
	v_and_b32_e32 v2, 0xffff, v2
	v_lshlrev_b64 v[10:11], s4, v[2:3]
	s_add_u32 s4, s4, 8
	s_addc_u32 s5, s5, 0
	v_or_b32_e32 v16, v10, v16
	s_cmp_lg_u32 s21, s18
	v_or_b32_e32 v17, v11, v17
	s_cbranch_scc1 .LBB1_162
	s_branch .LBB1_165
.LBB1_163:                              ;   in Loop: Header=BB1_143 Depth=1
	s_mov_b32 s20, 0
	s_branch .LBB1_166
.LBB1_164:                              ;   in Loop: Header=BB1_143 Depth=1
	v_mov_b32_e32 v16, 0
	v_mov_b32_e32 v17, 0
.LBB1_165:                              ;   in Loop: Header=BB1_143 Depth=1
	s_mov_b64 s[4:5], s[16:17]
	s_mov_b32 s20, 0
	s_cbranch_execnz .LBB1_167
.LBB1_166:                              ;   in Loop: Header=BB1_143 Depth=1
	global_load_dwordx2 v[16:17], v3, s[16:17]
	s_add_i32 s20, s21, -8
.LBB1_167:                              ;   in Loop: Header=BB1_143 Depth=1
	s_add_u32 s16, s4, 8
	s_addc_u32 s17, s5, 0
	s_cmp_gt_u32 s20, 7
	s_cbranch_scc1 .LBB1_171
; %bb.168:                              ;   in Loop: Header=BB1_143 Depth=1
	s_cmp_eq_u32 s20, 0
	s_cbranch_scc1 .LBB1_172
; %bb.169:                              ;   in Loop: Header=BB1_143 Depth=1
	v_mov_b32_e32 v18, 0
	s_mov_b64 s[16:17], 0
	v_mov_b32_e32 v19, 0
	s_mov_b64 s[18:19], 0
.LBB1_170:                              ;   Parent Loop BB1_143 Depth=1
                                        ; =>  This Inner Loop Header: Depth=2
	s_add_u32 s22, s4, s18
	s_addc_u32 s23, s5, s19
	global_load_ubyte v2, v3, s[22:23]
	s_add_u32 s18, s18, 1
	s_addc_u32 s19, s19, 0
	s_waitcnt vmcnt(0)
	v_and_b32_e32 v2, 0xffff, v2
	v_lshlrev_b64 v[10:11], s16, v[2:3]
	s_add_u32 s16, s16, 8
	s_addc_u32 s17, s17, 0
	v_or_b32_e32 v18, v10, v18
	s_cmp_lg_u32 s20, s18
	v_or_b32_e32 v19, v11, v19
	s_cbranch_scc1 .LBB1_170
	s_branch .LBB1_173
.LBB1_171:                              ;   in Loop: Header=BB1_143 Depth=1
                                        ; implicit-def: $vgpr18_vgpr19
	s_mov_b32 s21, 0
	s_branch .LBB1_174
.LBB1_172:                              ;   in Loop: Header=BB1_143 Depth=1
	v_mov_b32_e32 v18, 0
	v_mov_b32_e32 v19, 0
.LBB1_173:                              ;   in Loop: Header=BB1_143 Depth=1
	s_mov_b64 s[16:17], s[4:5]
	s_mov_b32 s21, 0
	s_cbranch_execnz .LBB1_175
.LBB1_174:                              ;   in Loop: Header=BB1_143 Depth=1
	global_load_dwordx2 v[18:19], v3, s[4:5]
	s_add_i32 s21, s20, -8
.LBB1_175:                              ;   in Loop: Header=BB1_143 Depth=1
	s_add_u32 s4, s16, 8
	s_addc_u32 s5, s17, 0
	s_cmp_gt_u32 s21, 7
	s_cbranch_scc1 .LBB1_179
; %bb.176:                              ;   in Loop: Header=BB1_143 Depth=1
	s_cmp_eq_u32 s21, 0
	s_cbranch_scc1 .LBB1_180
; %bb.177:                              ;   in Loop: Header=BB1_143 Depth=1
	v_mov_b32_e32 v20, 0
	s_mov_b64 s[4:5], 0
	v_mov_b32_e32 v21, 0
	s_mov_b64 s[18:19], 0
.LBB1_178:                              ;   Parent Loop BB1_143 Depth=1
                                        ; =>  This Inner Loop Header: Depth=2
	s_add_u32 s22, s16, s18
	s_addc_u32 s23, s17, s19
	global_load_ubyte v2, v3, s[22:23]
	s_add_u32 s18, s18, 1
	s_addc_u32 s19, s19, 0
	s_waitcnt vmcnt(0)
	v_and_b32_e32 v2, 0xffff, v2
	v_lshlrev_b64 v[10:11], s4, v[2:3]
	s_add_u32 s4, s4, 8
	s_addc_u32 s5, s5, 0
	v_or_b32_e32 v20, v10, v20
	s_cmp_lg_u32 s21, s18
	v_or_b32_e32 v21, v11, v21
	s_cbranch_scc1 .LBB1_178
	s_branch .LBB1_181
.LBB1_179:                              ;   in Loop: Header=BB1_143 Depth=1
	s_mov_b32 s20, 0
	s_branch .LBB1_182
.LBB1_180:                              ;   in Loop: Header=BB1_143 Depth=1
	v_mov_b32_e32 v20, 0
	v_mov_b32_e32 v21, 0
.LBB1_181:                              ;   in Loop: Header=BB1_143 Depth=1
	s_mov_b64 s[4:5], s[16:17]
	s_mov_b32 s20, 0
	s_cbranch_execnz .LBB1_183
.LBB1_182:                              ;   in Loop: Header=BB1_143 Depth=1
	global_load_dwordx2 v[20:21], v3, s[16:17]
	s_add_i32 s20, s21, -8
.LBB1_183:                              ;   in Loop: Header=BB1_143 Depth=1
	s_add_u32 s16, s4, 8
	s_addc_u32 s17, s5, 0
	s_cmp_gt_u32 s20, 7
	s_cbranch_scc1 .LBB1_187
; %bb.184:                              ;   in Loop: Header=BB1_143 Depth=1
	s_cmp_eq_u32 s20, 0
	s_cbranch_scc1 .LBB1_188
; %bb.185:                              ;   in Loop: Header=BB1_143 Depth=1
	v_mov_b32_e32 v22, 0
	s_mov_b64 s[16:17], 0
	v_mov_b32_e32 v23, 0
	s_mov_b64 s[18:19], 0
.LBB1_186:                              ;   Parent Loop BB1_143 Depth=1
                                        ; =>  This Inner Loop Header: Depth=2
	s_add_u32 s22, s4, s18
	s_addc_u32 s23, s5, s19
	global_load_ubyte v2, v3, s[22:23]
	s_add_u32 s18, s18, 1
	s_addc_u32 s19, s19, 0
	s_waitcnt vmcnt(0)
	v_and_b32_e32 v2, 0xffff, v2
	v_lshlrev_b64 v[10:11], s16, v[2:3]
	s_add_u32 s16, s16, 8
	s_addc_u32 s17, s17, 0
	v_or_b32_e32 v22, v10, v22
	s_cmp_lg_u32 s20, s18
	v_or_b32_e32 v23, v11, v23
	s_cbranch_scc1 .LBB1_186
	s_branch .LBB1_189
.LBB1_187:                              ;   in Loop: Header=BB1_143 Depth=1
                                        ; implicit-def: $vgpr22_vgpr23
	s_mov_b32 s21, 0
	s_branch .LBB1_190
.LBB1_188:                              ;   in Loop: Header=BB1_143 Depth=1
	v_mov_b32_e32 v22, 0
	v_mov_b32_e32 v23, 0
.LBB1_189:                              ;   in Loop: Header=BB1_143 Depth=1
	s_mov_b64 s[16:17], s[4:5]
	s_mov_b32 s21, 0
	s_cbranch_execnz .LBB1_191
.LBB1_190:                              ;   in Loop: Header=BB1_143 Depth=1
	global_load_dwordx2 v[22:23], v3, s[4:5]
	s_add_i32 s21, s20, -8
.LBB1_191:                              ;   in Loop: Header=BB1_143 Depth=1
	s_cmp_gt_u32 s21, 7
	s_cbranch_scc1 .LBB1_195
; %bb.192:                              ;   in Loop: Header=BB1_143 Depth=1
	s_cmp_eq_u32 s21, 0
	s_cbranch_scc1 .LBB1_196
; %bb.193:                              ;   in Loop: Header=BB1_143 Depth=1
	v_mov_b32_e32 v24, 0
	s_mov_b64 s[4:5], 0
	v_mov_b32_e32 v25, 0
	s_mov_b64 s[18:19], s[16:17]
.LBB1_194:                              ;   Parent Loop BB1_143 Depth=1
                                        ; =>  This Inner Loop Header: Depth=2
	global_load_ubyte v2, v3, s[18:19]
	s_add_i32 s21, s21, -1
	s_waitcnt vmcnt(0)
	v_and_b32_e32 v2, 0xffff, v2
	v_lshlrev_b64 v[10:11], s4, v[2:3]
	s_add_u32 s4, s4, 8
	s_addc_u32 s5, s5, 0
	s_add_u32 s18, s18, 1
	s_addc_u32 s19, s19, 0
	v_or_b32_e32 v24, v10, v24
	s_cmp_lg_u32 s21, 0
	v_or_b32_e32 v25, v11, v25
	s_cbranch_scc1 .LBB1_194
	s_branch .LBB1_197
.LBB1_195:                              ;   in Loop: Header=BB1_143 Depth=1
	s_branch .LBB1_198
.LBB1_196:                              ;   in Loop: Header=BB1_143 Depth=1
	v_mov_b32_e32 v24, 0
	v_mov_b32_e32 v25, 0
.LBB1_197:                              ;   in Loop: Header=BB1_143 Depth=1
	s_cbranch_execnz .LBB1_199
.LBB1_198:                              ;   in Loop: Header=BB1_143 Depth=1
	global_load_dwordx2 v[24:25], v3, s[16:17]
.LBB1_199:                              ;   in Loop: Header=BB1_143 Depth=1
	v_readfirstlane_b32 s4, v34
	v_mov_b32_e32 v10, 0
	v_mov_b32_e32 v11, 0
	v_cmp_eq_u32_e64 s[4:5], s4, v34
	s_and_saveexec_b64 s[16:17], s[4:5]
	s_cbranch_execz .LBB1_205
; %bb.200:                              ;   in Loop: Header=BB1_143 Depth=1
	global_load_dwordx2 v[28:29], v3, s[10:11] offset:24 glc
	s_waitcnt vmcnt(0)
	buffer_wbinvl1_vol
	global_load_dwordx2 v[10:11], v3, s[10:11] offset:40
	global_load_dwordx2 v[26:27], v3, s[10:11]
	s_waitcnt vmcnt(1)
	v_and_b32_e32 v2, v10, v28
	v_and_b32_e32 v10, v11, v29
	v_mul_lo_u32 v10, v10, 24
	v_mul_hi_u32 v11, v2, 24
	v_mul_lo_u32 v2, v2, 24
	v_add_u32_e32 v11, v11, v10
	s_waitcnt vmcnt(0)
	v_add_co_u32_e32 v10, vcc, v26, v2
	v_addc_co_u32_e32 v11, vcc, v27, v11, vcc
	global_load_dwordx2 v[26:27], v[10:11], off glc
	s_waitcnt vmcnt(0)
	global_atomic_cmpswap_x2 v[10:11], v3, v[26:29], s[10:11] offset:24 glc
	s_waitcnt vmcnt(0)
	buffer_wbinvl1_vol
	v_cmp_ne_u64_e32 vcc, v[10:11], v[28:29]
	s_and_saveexec_b64 s[18:19], vcc
	s_cbranch_execz .LBB1_204
; %bb.201:                              ;   in Loop: Header=BB1_143 Depth=1
	s_mov_b64 s[20:21], 0
.LBB1_202:                              ;   Parent Loop BB1_143 Depth=1
                                        ; =>  This Inner Loop Header: Depth=2
	s_sleep 1
	global_load_dwordx2 v[26:27], v3, s[10:11] offset:40
	global_load_dwordx2 v[30:31], v3, s[10:11]
	v_mov_b32_e32 v29, v11
	v_mov_b32_e32 v28, v10
	s_waitcnt vmcnt(1)
	v_and_b32_e32 v2, v26, v28
	s_waitcnt vmcnt(0)
	v_mad_u64_u32 v[10:11], s[22:23], v2, 24, v[30:31]
	v_and_b32_e32 v26, v27, v29
	v_mov_b32_e32 v2, v11
	v_mad_u64_u32 v[26:27], s[22:23], v26, 24, v[2:3]
	v_mov_b32_e32 v11, v26
	global_load_dwordx2 v[26:27], v[10:11], off glc
	s_waitcnt vmcnt(0)
	global_atomic_cmpswap_x2 v[10:11], v3, v[26:29], s[10:11] offset:24 glc
	s_waitcnt vmcnt(0)
	buffer_wbinvl1_vol
	v_cmp_eq_u64_e32 vcc, v[10:11], v[28:29]
	s_or_b64 s[20:21], vcc, s[20:21]
	s_andn2_b64 exec, exec, s[20:21]
	s_cbranch_execnz .LBB1_202
; %bb.203:                              ;   in Loop: Header=BB1_143 Depth=1
	s_or_b64 exec, exec, s[20:21]
.LBB1_204:                              ;   in Loop: Header=BB1_143 Depth=1
	s_or_b64 exec, exec, s[18:19]
.LBB1_205:                              ;   in Loop: Header=BB1_143 Depth=1
	s_or_b64 exec, exec, s[16:17]
	global_load_dwordx2 v[30:31], v3, s[10:11] offset:40
	global_load_dwordx4 v[26:29], v3, s[10:11]
	v_readfirstlane_b32 s17, v11
	v_readfirstlane_b32 s16, v10
	s_mov_b64 s[18:19], exec
	s_waitcnt vmcnt(1)
	v_readfirstlane_b32 s20, v30
	v_readfirstlane_b32 s21, v31
	s_and_b64 s[20:21], s[20:21], s[16:17]
	s_mul_i32 s22, s21, 24
	s_mul_hi_u32 s23, s20, 24
	s_mul_i32 s24, s20, 24
	s_add_i32 s22, s23, s22
	v_mov_b32_e32 v2, s22
	s_waitcnt vmcnt(0)
	v_add_co_u32_e32 v30, vcc, s24, v26
	v_addc_co_u32_e32 v31, vcc, v27, v2, vcc
	s_and_saveexec_b64 s[22:23], s[4:5]
	s_cbranch_execz .LBB1_207
; %bb.206:                              ;   in Loop: Header=BB1_143 Depth=1
	v_mov_b32_e32 v10, s18
	v_mov_b32_e32 v11, s19
	global_store_dwordx4 v[30:31], v[10:13], off offset:8
.LBB1_207:                              ;   in Loop: Header=BB1_143 Depth=1
	s_or_b64 exec, exec, s[22:23]
	s_lshl_b64 s[18:19], s[20:21], 12
	v_mov_b32_e32 v2, s19
	v_add_co_u32_e32 v28, vcc, s18, v28
	v_addc_co_u32_e32 v29, vcc, v29, v2, vcc
	v_cmp_lt_u64_e64 vcc, s[12:13], 57
	s_lshl_b32 s18, s14, 2
	v_cndmask_b32_e32 v2, 0, v32, vcc
	s_add_i32 s18, s18, 28
	v_and_b32_e32 v6, 0xffffff1f, v6
	s_and_b32 s18, s18, 0x1e0
	v_or_b32_e32 v2, v6, v2
	v_or_b32_e32 v6, s18, v2
	v_readfirstlane_b32 s18, v28
	v_readfirstlane_b32 s19, v29
	s_nop 4
	global_store_dwordx4 v35, v[6:9], s[18:19]
	global_store_dwordx4 v35, v[14:17], s[18:19] offset:16
	global_store_dwordx4 v35, v[18:21], s[18:19] offset:32
	;; [unrolled: 1-line block ×3, first 2 shown]
	s_and_saveexec_b64 s[18:19], s[4:5]
	s_cbranch_execz .LBB1_215
; %bb.208:                              ;   in Loop: Header=BB1_143 Depth=1
	global_load_dwordx2 v[16:17], v3, s[10:11] offset:32 glc
	global_load_dwordx2 v[6:7], v3, s[10:11] offset:40
	v_mov_b32_e32 v14, s16
	v_mov_b32_e32 v15, s17
	s_waitcnt vmcnt(0)
	v_readfirstlane_b32 s20, v6
	v_readfirstlane_b32 s21, v7
	s_and_b64 s[20:21], s[20:21], s[16:17]
	s_mul_i32 s21, s21, 24
	s_mul_hi_u32 s22, s20, 24
	s_mul_i32 s20, s20, 24
	s_add_i32 s21, s22, s21
	v_mov_b32_e32 v2, s21
	v_add_co_u32_e32 v10, vcc, s20, v26
	v_addc_co_u32_e32 v11, vcc, v27, v2, vcc
	global_store_dwordx2 v[10:11], v[16:17], off
	s_waitcnt vmcnt(0)
	global_atomic_cmpswap_x2 v[8:9], v3, v[14:17], s[10:11] offset:32 glc
	s_waitcnt vmcnt(0)
	v_cmp_ne_u64_e32 vcc, v[8:9], v[16:17]
	s_and_saveexec_b64 s[20:21], vcc
	s_cbranch_execz .LBB1_211
; %bb.209:                              ;   in Loop: Header=BB1_143 Depth=1
	s_mov_b64 s[22:23], 0
.LBB1_210:                              ;   Parent Loop BB1_143 Depth=1
                                        ; =>  This Inner Loop Header: Depth=2
	s_sleep 1
	global_store_dwordx2 v[10:11], v[8:9], off
	v_mov_b32_e32 v6, s16
	v_mov_b32_e32 v7, s17
	s_waitcnt vmcnt(0)
	global_atomic_cmpswap_x2 v[6:7], v3, v[6:9], s[10:11] offset:32 glc
	s_waitcnt vmcnt(0)
	v_cmp_eq_u64_e32 vcc, v[6:7], v[8:9]
	v_mov_b32_e32 v9, v7
	s_or_b64 s[22:23], vcc, s[22:23]
	v_mov_b32_e32 v8, v6
	s_andn2_b64 exec, exec, s[22:23]
	s_cbranch_execnz .LBB1_210
.LBB1_211:                              ;   in Loop: Header=BB1_143 Depth=1
	s_or_b64 exec, exec, s[20:21]
	global_load_dwordx2 v[6:7], v3, s[10:11] offset:16
	s_mov_b64 s[22:23], exec
	v_mbcnt_lo_u32_b32 v2, s22, 0
	v_mbcnt_hi_u32_b32 v2, s23, v2
	v_cmp_eq_u32_e32 vcc, 0, v2
	s_and_saveexec_b64 s[20:21], vcc
	s_cbranch_execz .LBB1_213
; %bb.212:                              ;   in Loop: Header=BB1_143 Depth=1
	s_bcnt1_i32_b64 s22, s[22:23]
	v_mov_b32_e32 v2, s22
	s_waitcnt vmcnt(0)
	global_atomic_add_x2 v[6:7], v[2:3], off offset:8
.LBB1_213:                              ;   in Loop: Header=BB1_143 Depth=1
	s_or_b64 exec, exec, s[20:21]
	s_waitcnt vmcnt(0)
	global_load_dwordx2 v[8:9], v[6:7], off offset:16
	s_waitcnt vmcnt(0)
	v_cmp_eq_u64_e32 vcc, 0, v[8:9]
	s_cbranch_vccnz .LBB1_215
; %bb.214:                              ;   in Loop: Header=BB1_143 Depth=1
	global_load_dword v2, v[6:7], off offset:24
	s_waitcnt vmcnt(0)
	v_readfirstlane_b32 s20, v2
	s_and_b32 m0, s20, 0xffffff
	global_store_dwordx2 v[8:9], v[2:3], off
	s_sendmsg sendmsg(MSG_INTERRUPT)
.LBB1_215:                              ;   in Loop: Header=BB1_143 Depth=1
	s_or_b64 exec, exec, s[18:19]
	v_add_co_u32_e32 v6, vcc, v28, v35
	v_addc_co_u32_e32 v7, vcc, 0, v29, vcc
	s_branch .LBB1_219
.LBB1_216:                              ;   in Loop: Header=BB1_219 Depth=2
	s_or_b64 exec, exec, s[18:19]
	v_readfirstlane_b32 s18, v2
	s_cmp_eq_u32 s18, 0
	s_cbranch_scc1 .LBB1_218
; %bb.217:                              ;   in Loop: Header=BB1_219 Depth=2
	s_sleep 1
	s_cbranch_execnz .LBB1_219
	s_branch .LBB1_221
.LBB1_218:                              ;   in Loop: Header=BB1_143 Depth=1
	s_branch .LBB1_221
.LBB1_219:                              ;   Parent Loop BB1_143 Depth=1
                                        ; =>  This Inner Loop Header: Depth=2
	v_mov_b32_e32 v2, 1
	s_and_saveexec_b64 s[18:19], s[4:5]
	s_cbranch_execz .LBB1_216
; %bb.220:                              ;   in Loop: Header=BB1_219 Depth=2
	global_load_dword v2, v[30:31], off offset:20 glc
	s_waitcnt vmcnt(0)
	buffer_wbinvl1_vol
	v_and_b32_e32 v2, 1, v2
	s_branch .LBB1_216
.LBB1_221:                              ;   in Loop: Header=BB1_143 Depth=1
	global_load_dwordx2 v[6:7], v[6:7], off
	s_and_saveexec_b64 s[18:19], s[4:5]
	s_cbranch_execz .LBB1_142
; %bb.222:                              ;   in Loop: Header=BB1_143 Depth=1
	global_load_dwordx2 v[8:9], v3, s[10:11] offset:40
	global_load_dwordx2 v[18:19], v3, s[10:11] offset:24 glc
	global_load_dwordx2 v[10:11], v3, s[10:11]
	s_waitcnt vmcnt(2)
	v_readfirstlane_b32 s20, v8
	v_readfirstlane_b32 s21, v9
	s_add_u32 s22, s20, 1
	s_addc_u32 s23, s21, 0
	s_add_u32 s4, s22, s16
	s_addc_u32 s5, s23, s17
	s_cmp_eq_u64 s[4:5], 0
	s_cselect_b32 s5, s23, s5
	s_cselect_b32 s4, s22, s4
	s_and_b64 s[16:17], s[4:5], s[20:21]
	s_mul_i32 s17, s17, 24
	s_mul_hi_u32 s20, s16, 24
	s_mul_i32 s16, s16, 24
	s_add_i32 s17, s20, s17
	v_mov_b32_e32 v2, s17
	s_waitcnt vmcnt(0)
	v_add_co_u32_e32 v14, vcc, s16, v10
	v_addc_co_u32_e32 v15, vcc, v11, v2, vcc
	v_mov_b32_e32 v16, s4
	global_store_dwordx2 v[14:15], v[18:19], off
	v_mov_b32_e32 v17, s5
	s_waitcnt vmcnt(0)
	global_atomic_cmpswap_x2 v[10:11], v3, v[16:19], s[10:11] offset:24 glc
	s_waitcnt vmcnt(0)
	v_cmp_ne_u64_e32 vcc, v[10:11], v[18:19]
	s_and_b64 exec, exec, vcc
	s_cbranch_execz .LBB1_142
; %bb.223:                              ;   in Loop: Header=BB1_143 Depth=1
	s_mov_b64 s[16:17], 0
.LBB1_224:                              ;   Parent Loop BB1_143 Depth=1
                                        ; =>  This Inner Loop Header: Depth=2
	s_sleep 1
	global_store_dwordx2 v[14:15], v[10:11], off
	v_mov_b32_e32 v8, s4
	v_mov_b32_e32 v9, s5
	s_waitcnt vmcnt(0)
	global_atomic_cmpswap_x2 v[8:9], v3, v[8:11], s[10:11] offset:24 glc
	s_waitcnt vmcnt(0)
	v_cmp_eq_u64_e32 vcc, v[8:9], v[10:11]
	v_mov_b32_e32 v11, v9
	s_or_b64 s[16:17], vcc, s[16:17]
	v_mov_b32_e32 v10, v8
	s_andn2_b64 exec, exec, s[16:17]
	s_cbranch_execnz .LBB1_224
	s_branch .LBB1_142
.LBB1_225:
                                        ; implicit-def: $vgpr6_vgpr7
	s_cbranch_execnz .LBB1_227
	s_branch .LBB1_253
.LBB1_226:
	s_branch .LBB1_253
.LBB1_227:
	v_readfirstlane_b32 s4, v34
	v_mov_b32_e32 v10, 0
	v_mov_b32_e32 v11, 0
	v_cmp_eq_u32_e64 s[4:5], s4, v34
	s_and_saveexec_b64 s[6:7], s[4:5]
	s_cbranch_execz .LBB1_233
; %bb.228:
	v_mov_b32_e32 v2, 0
	global_load_dwordx2 v[8:9], v2, s[10:11] offset:24 glc
	s_waitcnt vmcnt(0)
	buffer_wbinvl1_vol
	global_load_dwordx2 v[6:7], v2, s[10:11] offset:40
	global_load_dwordx2 v[10:11], v2, s[10:11]
	s_waitcnt vmcnt(1)
	v_and_b32_e32 v3, v6, v8
	v_and_b32_e32 v6, v7, v9
	v_mul_lo_u32 v6, v6, 24
	v_mul_hi_u32 v7, v3, 24
	v_mul_lo_u32 v3, v3, 24
	v_add_u32_e32 v7, v7, v6
	s_waitcnt vmcnt(0)
	v_add_co_u32_e32 v6, vcc, v10, v3
	v_addc_co_u32_e32 v7, vcc, v11, v7, vcc
	global_load_dwordx2 v[6:7], v[6:7], off glc
	s_waitcnt vmcnt(0)
	global_atomic_cmpswap_x2 v[10:11], v2, v[6:9], s[10:11] offset:24 glc
	s_waitcnt vmcnt(0)
	buffer_wbinvl1_vol
	v_cmp_ne_u64_e32 vcc, v[10:11], v[8:9]
	s_and_saveexec_b64 s[12:13], vcc
	s_cbranch_execz .LBB1_232
; %bb.229:
	s_mov_b64 s[14:15], 0
.LBB1_230:                              ; =>This Inner Loop Header: Depth=1
	s_sleep 1
	global_load_dwordx2 v[6:7], v2, s[10:11] offset:40
	global_load_dwordx2 v[12:13], v2, s[10:11]
	v_mov_b32_e32 v8, v10
	v_mov_b32_e32 v9, v11
	s_waitcnt vmcnt(1)
	v_and_b32_e32 v3, v6, v8
	s_waitcnt vmcnt(0)
	v_mad_u64_u32 v[10:11], s[16:17], v3, 24, v[12:13]
	v_and_b32_e32 v6, v7, v9
	v_mov_b32_e32 v3, v11
	v_mad_u64_u32 v[6:7], s[16:17], v6, 24, v[3:4]
	v_mov_b32_e32 v11, v6
	global_load_dwordx2 v[6:7], v[10:11], off glc
	s_waitcnt vmcnt(0)
	global_atomic_cmpswap_x2 v[10:11], v2, v[6:9], s[10:11] offset:24 glc
	s_waitcnt vmcnt(0)
	buffer_wbinvl1_vol
	v_cmp_eq_u64_e32 vcc, v[10:11], v[8:9]
	s_or_b64 s[14:15], vcc, s[14:15]
	s_andn2_b64 exec, exec, s[14:15]
	s_cbranch_execnz .LBB1_230
; %bb.231:
	s_or_b64 exec, exec, s[14:15]
.LBB1_232:
	s_or_b64 exec, exec, s[12:13]
.LBB1_233:
	s_or_b64 exec, exec, s[6:7]
	v_mov_b32_e32 v2, 0
	global_load_dwordx2 v[12:13], v2, s[10:11] offset:40
	global_load_dwordx4 v[6:9], v2, s[10:11]
	v_readfirstlane_b32 s7, v11
	v_readfirstlane_b32 s6, v10
	s_mov_b64 s[12:13], exec
	s_waitcnt vmcnt(1)
	v_readfirstlane_b32 s14, v12
	v_readfirstlane_b32 s15, v13
	s_and_b64 s[14:15], s[14:15], s[6:7]
	s_mul_i32 s16, s15, 24
	s_mul_hi_u32 s17, s14, 24
	s_mul_i32 s18, s14, 24
	s_add_i32 s16, s17, s16
	v_mov_b32_e32 v3, s16
	s_waitcnt vmcnt(0)
	v_add_co_u32_e32 v10, vcc, s18, v6
	v_addc_co_u32_e32 v11, vcc, v7, v3, vcc
	s_and_saveexec_b64 s[16:17], s[4:5]
	s_cbranch_execz .LBB1_235
; %bb.234:
	v_mov_b32_e32 v12, s12
	v_mov_b32_e32 v13, s13
	v_mov_b32_e32 v14, 2
	v_mov_b32_e32 v15, 1
	global_store_dwordx4 v[10:11], v[12:15], off offset:8
.LBB1_235:
	s_or_b64 exec, exec, s[16:17]
	s_lshl_b64 s[12:13], s[14:15], 12
	v_mov_b32_e32 v3, s13
	v_add_co_u32_e32 v12, vcc, s12, v8
	v_addc_co_u32_e32 v13, vcc, v9, v3, vcc
	s_movk_i32 s12, 0xff1f
	v_and_or_b32 v0, v0, s12, 32
	s_mov_b32 s12, 0
	v_mov_b32_e32 v3, v2
	v_readfirstlane_b32 s16, v12
	v_readfirstlane_b32 s17, v13
	v_add_co_u32_e32 v8, vcc, v12, v35
	s_mov_b32 s13, s12
	s_mov_b32 s14, s12
	;; [unrolled: 1-line block ×3, first 2 shown]
	s_nop 0
	global_store_dwordx4 v35, v[0:3], s[16:17]
	v_addc_co_u32_e32 v9, vcc, 0, v13, vcc
	v_mov_b32_e32 v0, s12
	v_mov_b32_e32 v1, s13
	;; [unrolled: 1-line block ×4, first 2 shown]
	global_store_dwordx4 v35, v[0:3], s[16:17] offset:16
	global_store_dwordx4 v35, v[0:3], s[16:17] offset:32
	;; [unrolled: 1-line block ×3, first 2 shown]
	s_and_saveexec_b64 s[12:13], s[4:5]
	s_cbranch_execz .LBB1_243
; %bb.236:
	v_mov_b32_e32 v12, 0
	global_load_dwordx2 v[15:16], v12, s[10:11] offset:32 glc
	global_load_dwordx2 v[0:1], v12, s[10:11] offset:40
	v_mov_b32_e32 v13, s6
	v_mov_b32_e32 v14, s7
	s_waitcnt vmcnt(0)
	v_readfirstlane_b32 s14, v0
	v_readfirstlane_b32 s15, v1
	s_and_b64 s[14:15], s[14:15], s[6:7]
	s_mul_i32 s15, s15, 24
	s_mul_hi_u32 s16, s14, 24
	s_mul_i32 s14, s14, 24
	s_add_i32 s15, s16, s15
	v_mov_b32_e32 v0, s15
	v_add_co_u32_e32 v6, vcc, s14, v6
	v_addc_co_u32_e32 v7, vcc, v7, v0, vcc
	global_store_dwordx2 v[6:7], v[15:16], off
	s_waitcnt vmcnt(0)
	global_atomic_cmpswap_x2 v[2:3], v12, v[13:16], s[10:11] offset:32 glc
	s_waitcnt vmcnt(0)
	v_cmp_ne_u64_e32 vcc, v[2:3], v[15:16]
	s_and_saveexec_b64 s[14:15], vcc
	s_cbranch_execz .LBB1_239
; %bb.237:
	s_mov_b64 s[16:17], 0
.LBB1_238:                              ; =>This Inner Loop Header: Depth=1
	s_sleep 1
	global_store_dwordx2 v[6:7], v[2:3], off
	v_mov_b32_e32 v0, s6
	v_mov_b32_e32 v1, s7
	s_waitcnt vmcnt(0)
	global_atomic_cmpswap_x2 v[0:1], v12, v[0:3], s[10:11] offset:32 glc
	s_waitcnt vmcnt(0)
	v_cmp_eq_u64_e32 vcc, v[0:1], v[2:3]
	v_mov_b32_e32 v3, v1
	s_or_b64 s[16:17], vcc, s[16:17]
	v_mov_b32_e32 v2, v0
	s_andn2_b64 exec, exec, s[16:17]
	s_cbranch_execnz .LBB1_238
.LBB1_239:
	s_or_b64 exec, exec, s[14:15]
	v_mov_b32_e32 v3, 0
	global_load_dwordx2 v[0:1], v3, s[10:11] offset:16
	s_mov_b64 s[14:15], exec
	v_mbcnt_lo_u32_b32 v2, s14, 0
	v_mbcnt_hi_u32_b32 v2, s15, v2
	v_cmp_eq_u32_e32 vcc, 0, v2
	s_and_saveexec_b64 s[16:17], vcc
	s_cbranch_execz .LBB1_241
; %bb.240:
	s_bcnt1_i32_b64 s14, s[14:15]
	v_mov_b32_e32 v2, s14
	s_waitcnt vmcnt(0)
	global_atomic_add_x2 v[0:1], v[2:3], off offset:8
.LBB1_241:
	s_or_b64 exec, exec, s[16:17]
	s_waitcnt vmcnt(0)
	global_load_dwordx2 v[2:3], v[0:1], off offset:16
	s_waitcnt vmcnt(0)
	v_cmp_eq_u64_e32 vcc, 0, v[2:3]
	s_cbranch_vccnz .LBB1_243
; %bb.242:
	global_load_dword v0, v[0:1], off offset:24
	v_mov_b32_e32 v1, 0
	s_waitcnt vmcnt(0)
	v_readfirstlane_b32 s14, v0
	s_and_b32 m0, s14, 0xffffff
	global_store_dwordx2 v[2:3], v[0:1], off
	s_sendmsg sendmsg(MSG_INTERRUPT)
.LBB1_243:
	s_or_b64 exec, exec, s[12:13]
	s_branch .LBB1_247
.LBB1_244:                              ;   in Loop: Header=BB1_247 Depth=1
	s_or_b64 exec, exec, s[12:13]
	v_readfirstlane_b32 s12, v0
	s_cmp_eq_u32 s12, 0
	s_cbranch_scc1 .LBB1_246
; %bb.245:                              ;   in Loop: Header=BB1_247 Depth=1
	s_sleep 1
	s_cbranch_execnz .LBB1_247
	s_branch .LBB1_249
.LBB1_246:
	s_branch .LBB1_249
.LBB1_247:                              ; =>This Inner Loop Header: Depth=1
	v_mov_b32_e32 v0, 1
	s_and_saveexec_b64 s[12:13], s[4:5]
	s_cbranch_execz .LBB1_244
; %bb.248:                              ;   in Loop: Header=BB1_247 Depth=1
	global_load_dword v0, v[10:11], off offset:20 glc
	s_waitcnt vmcnt(0)
	buffer_wbinvl1_vol
	v_and_b32_e32 v0, 1, v0
	s_branch .LBB1_244
.LBB1_249:
	global_load_dwordx2 v[6:7], v[8:9], off
	s_and_saveexec_b64 s[12:13], s[4:5]
	s_cbranch_execz .LBB1_252
; %bb.250:
	v_mov_b32_e32 v10, 0
	global_load_dwordx2 v[0:1], v10, s[10:11] offset:40
	global_load_dwordx2 v[13:14], v10, s[10:11] offset:24 glc
	global_load_dwordx2 v[2:3], v10, s[10:11]
	s_waitcnt vmcnt(2)
	v_readfirstlane_b32 s14, v0
	v_readfirstlane_b32 s15, v1
	s_add_u32 s16, s14, 1
	s_addc_u32 s17, s15, 0
	s_add_u32 s4, s16, s6
	s_addc_u32 s5, s17, s7
	s_cmp_eq_u64 s[4:5], 0
	s_cselect_b32 s5, s17, s5
	s_cselect_b32 s4, s16, s4
	s_and_b64 s[6:7], s[4:5], s[14:15]
	s_mul_i32 s7, s7, 24
	s_mul_hi_u32 s14, s6, 24
	s_mul_i32 s6, s6, 24
	s_add_i32 s7, s14, s7
	v_mov_b32_e32 v0, s7
	s_waitcnt vmcnt(0)
	v_add_co_u32_e32 v8, vcc, s6, v2
	v_addc_co_u32_e32 v9, vcc, v3, v0, vcc
	v_mov_b32_e32 v11, s4
	global_store_dwordx2 v[8:9], v[13:14], off
	v_mov_b32_e32 v12, s5
	s_waitcnt vmcnt(0)
	global_atomic_cmpswap_x2 v[2:3], v10, v[11:14], s[10:11] offset:24 glc
	s_mov_b64 s[6:7], 0
	s_waitcnt vmcnt(0)
	v_cmp_ne_u64_e32 vcc, v[2:3], v[13:14]
	s_and_b64 exec, exec, vcc
	s_cbranch_execz .LBB1_252
.LBB1_251:                              ; =>This Inner Loop Header: Depth=1
	s_sleep 1
	global_store_dwordx2 v[8:9], v[2:3], off
	v_mov_b32_e32 v0, s4
	v_mov_b32_e32 v1, s5
	s_waitcnt vmcnt(0)
	global_atomic_cmpswap_x2 v[0:1], v10, v[0:3], s[10:11] offset:24 glc
	s_waitcnt vmcnt(0)
	v_cmp_eq_u64_e32 vcc, v[0:1], v[2:3]
	v_mov_b32_e32 v3, v1
	s_or_b64 s[6:7], vcc, s[6:7]
	v_mov_b32_e32 v2, v0
	s_andn2_b64 exec, exec, s[6:7]
	s_cbranch_execnz .LBB1_251
.LBB1_252:
	s_or_b64 exec, exec, s[12:13]
.LBB1_253:
	v_readfirstlane_b32 s4, v34
	v_mov_b32_e32 v10, 0
	v_mov_b32_e32 v11, 0
	v_cmp_eq_u32_e64 s[4:5], s4, v34
	s_and_saveexec_b64 s[6:7], s[4:5]
	s_cbranch_execz .LBB1_259
; %bb.254:
	s_waitcnt vmcnt(0)
	v_mov_b32_e32 v0, 0
	global_load_dwordx2 v[12:13], v0, s[10:11] offset:24 glc
	s_waitcnt vmcnt(0)
	buffer_wbinvl1_vol
	global_load_dwordx2 v[1:2], v0, s[10:11] offset:40
	global_load_dwordx2 v[8:9], v0, s[10:11]
	s_waitcnt vmcnt(1)
	v_and_b32_e32 v1, v1, v12
	v_and_b32_e32 v2, v2, v13
	v_mul_lo_u32 v2, v2, 24
	v_mul_hi_u32 v3, v1, 24
	v_mul_lo_u32 v1, v1, 24
	v_add_u32_e32 v2, v3, v2
	s_waitcnt vmcnt(0)
	v_add_co_u32_e32 v1, vcc, v8, v1
	v_addc_co_u32_e32 v2, vcc, v9, v2, vcc
	global_load_dwordx2 v[10:11], v[1:2], off glc
	s_waitcnt vmcnt(0)
	global_atomic_cmpswap_x2 v[10:11], v0, v[10:13], s[10:11] offset:24 glc
	s_waitcnt vmcnt(0)
	buffer_wbinvl1_vol
	v_cmp_ne_u64_e32 vcc, v[10:11], v[12:13]
	s_and_saveexec_b64 s[12:13], vcc
	s_cbranch_execz .LBB1_258
; %bb.255:
	s_mov_b64 s[14:15], 0
.LBB1_256:                              ; =>This Inner Loop Header: Depth=1
	s_sleep 1
	global_load_dwordx2 v[1:2], v0, s[10:11] offset:40
	global_load_dwordx2 v[8:9], v0, s[10:11]
	v_mov_b32_e32 v13, v11
	v_mov_b32_e32 v12, v10
	s_waitcnt vmcnt(1)
	v_and_b32_e32 v1, v1, v12
	s_waitcnt vmcnt(0)
	v_mad_u64_u32 v[8:9], s[16:17], v1, 24, v[8:9]
	v_and_b32_e32 v2, v2, v13
	v_mov_b32_e32 v1, v9
	v_mad_u64_u32 v[1:2], s[16:17], v2, 24, v[1:2]
	v_mov_b32_e32 v9, v1
	global_load_dwordx2 v[10:11], v[8:9], off glc
	s_waitcnt vmcnt(0)
	global_atomic_cmpswap_x2 v[10:11], v0, v[10:13], s[10:11] offset:24 glc
	s_waitcnt vmcnt(0)
	buffer_wbinvl1_vol
	v_cmp_eq_u64_e32 vcc, v[10:11], v[12:13]
	s_or_b64 s[14:15], vcc, s[14:15]
	s_andn2_b64 exec, exec, s[14:15]
	s_cbranch_execnz .LBB1_256
; %bb.257:
	s_or_b64 exec, exec, s[14:15]
.LBB1_258:
	s_or_b64 exec, exec, s[12:13]
.LBB1_259:
	s_or_b64 exec, exec, s[6:7]
	v_mov_b32_e32 v9, 0
	global_load_dwordx2 v[12:13], v9, s[10:11] offset:40
	global_load_dwordx4 v[0:3], v9, s[10:11]
	v_readfirstlane_b32 s7, v11
	v_readfirstlane_b32 s6, v10
	s_mov_b64 s[12:13], exec
	s_waitcnt vmcnt(1)
	v_readfirstlane_b32 s14, v12
	v_readfirstlane_b32 s15, v13
	s_and_b64 s[14:15], s[14:15], s[6:7]
	s_mul_i32 s16, s15, 24
	s_mul_hi_u32 s17, s14, 24
	s_mul_i32 s18, s14, 24
	s_add_i32 s16, s17, s16
	v_mov_b32_e32 v8, s16
	s_waitcnt vmcnt(0)
	v_add_co_u32_e32 v10, vcc, s18, v0
	v_addc_co_u32_e32 v11, vcc, v1, v8, vcc
	s_and_saveexec_b64 s[16:17], s[4:5]
	s_cbranch_execz .LBB1_261
; %bb.260:
	v_mov_b32_e32 v12, s12
	v_mov_b32_e32 v13, s13
	v_mov_b32_e32 v14, 2
	v_mov_b32_e32 v15, 1
	global_store_dwordx4 v[10:11], v[12:15], off offset:8
.LBB1_261:
	s_or_b64 exec, exec, s[16:17]
	s_lshl_b64 s[12:13], s[14:15], 12
	v_mov_b32_e32 v8, s13
	v_add_co_u32_e32 v2, vcc, s12, v2
	v_addc_co_u32_e32 v3, vcc, v3, v8, vcc
	s_movk_i32 s12, 0xff1f
	v_and_or_b32 v6, v6, s12, 32
	s_mov_b32 s12, 0
	v_mov_b32_e32 v8, 0x331
	v_readfirstlane_b32 s16, v2
	v_readfirstlane_b32 s17, v3
	v_add_co_u32_e32 v12, vcc, v2, v35
	s_mov_b32 s13, s12
	s_mov_b32 s14, s12
	;; [unrolled: 1-line block ×3, first 2 shown]
	s_nop 0
	global_store_dwordx4 v35, v[6:9], s[16:17]
	v_addc_co_u32_e32 v13, vcc, 0, v3, vcc
	v_mov_b32_e32 v6, s12
	v_mov_b32_e32 v7, s13
	;; [unrolled: 1-line block ×4, first 2 shown]
	global_store_dwordx4 v35, v[6:9], s[16:17] offset:16
	global_store_dwordx4 v35, v[6:9], s[16:17] offset:32
	;; [unrolled: 1-line block ×3, first 2 shown]
	s_and_saveexec_b64 s[12:13], s[4:5]
	s_cbranch_execz .LBB1_269
; %bb.262:
	v_mov_b32_e32 v8, 0
	global_load_dwordx2 v[16:17], v8, s[10:11] offset:32 glc
	global_load_dwordx2 v[2:3], v8, s[10:11] offset:40
	v_mov_b32_e32 v14, s6
	v_mov_b32_e32 v15, s7
	s_waitcnt vmcnt(0)
	v_readfirstlane_b32 s14, v2
	v_readfirstlane_b32 s15, v3
	s_and_b64 s[14:15], s[14:15], s[6:7]
	s_mul_i32 s15, s15, 24
	s_mul_hi_u32 s16, s14, 24
	s_mul_i32 s14, s14, 24
	s_add_i32 s15, s16, s15
	v_mov_b32_e32 v2, s15
	v_add_co_u32_e32 v6, vcc, s14, v0
	v_addc_co_u32_e32 v7, vcc, v1, v2, vcc
	global_store_dwordx2 v[6:7], v[16:17], off
	s_waitcnt vmcnt(0)
	global_atomic_cmpswap_x2 v[2:3], v8, v[14:17], s[10:11] offset:32 glc
	s_waitcnt vmcnt(0)
	v_cmp_ne_u64_e32 vcc, v[2:3], v[16:17]
	s_and_saveexec_b64 s[14:15], vcc
	s_cbranch_execz .LBB1_265
; %bb.263:
	s_mov_b64 s[16:17], 0
.LBB1_264:                              ; =>This Inner Loop Header: Depth=1
	s_sleep 1
	global_store_dwordx2 v[6:7], v[2:3], off
	v_mov_b32_e32 v0, s6
	v_mov_b32_e32 v1, s7
	s_waitcnt vmcnt(0)
	global_atomic_cmpswap_x2 v[0:1], v8, v[0:3], s[10:11] offset:32 glc
	s_waitcnt vmcnt(0)
	v_cmp_eq_u64_e32 vcc, v[0:1], v[2:3]
	v_mov_b32_e32 v3, v1
	s_or_b64 s[16:17], vcc, s[16:17]
	v_mov_b32_e32 v2, v0
	s_andn2_b64 exec, exec, s[16:17]
	s_cbranch_execnz .LBB1_264
.LBB1_265:
	s_or_b64 exec, exec, s[14:15]
	v_mov_b32_e32 v3, 0
	global_load_dwordx2 v[0:1], v3, s[10:11] offset:16
	s_mov_b64 s[14:15], exec
	v_mbcnt_lo_u32_b32 v2, s14, 0
	v_mbcnt_hi_u32_b32 v2, s15, v2
	v_cmp_eq_u32_e32 vcc, 0, v2
	s_and_saveexec_b64 s[16:17], vcc
	s_cbranch_execz .LBB1_267
; %bb.266:
	s_bcnt1_i32_b64 s14, s[14:15]
	v_mov_b32_e32 v2, s14
	s_waitcnt vmcnt(0)
	global_atomic_add_x2 v[0:1], v[2:3], off offset:8
.LBB1_267:
	s_or_b64 exec, exec, s[16:17]
	s_waitcnt vmcnt(0)
	global_load_dwordx2 v[2:3], v[0:1], off offset:16
	s_waitcnt vmcnt(0)
	v_cmp_eq_u64_e32 vcc, 0, v[2:3]
	s_cbranch_vccnz .LBB1_269
; %bb.268:
	global_load_dword v0, v[0:1], off offset:24
	v_mov_b32_e32 v1, 0
	s_waitcnt vmcnt(0)
	v_readfirstlane_b32 s14, v0
	s_and_b32 m0, s14, 0xffffff
	global_store_dwordx2 v[2:3], v[0:1], off
	s_sendmsg sendmsg(MSG_INTERRUPT)
.LBB1_269:
	s_or_b64 exec, exec, s[12:13]
	s_branch .LBB1_273
.LBB1_270:                              ;   in Loop: Header=BB1_273 Depth=1
	s_or_b64 exec, exec, s[12:13]
	v_readfirstlane_b32 s12, v0
	s_cmp_eq_u32 s12, 0
	s_cbranch_scc1 .LBB1_272
; %bb.271:                              ;   in Loop: Header=BB1_273 Depth=1
	s_sleep 1
	s_cbranch_execnz .LBB1_273
	s_branch .LBB1_275
.LBB1_272:
	s_branch .LBB1_275
.LBB1_273:                              ; =>This Inner Loop Header: Depth=1
	v_mov_b32_e32 v0, 1
	s_and_saveexec_b64 s[12:13], s[4:5]
	s_cbranch_execz .LBB1_270
; %bb.274:                              ;   in Loop: Header=BB1_273 Depth=1
	global_load_dword v0, v[10:11], off offset:20 glc
	s_waitcnt vmcnt(0)
	buffer_wbinvl1_vol
	v_and_b32_e32 v0, 1, v0
	s_branch .LBB1_270
.LBB1_275:
	global_load_dwordx2 v[0:1], v[12:13], off
	s_and_saveexec_b64 s[12:13], s[4:5]
	s_cbranch_execz .LBB1_278
; %bb.276:
	v_mov_b32_e32 v10, 0
	global_load_dwordx2 v[2:3], v10, s[10:11] offset:40
	global_load_dwordx2 v[13:14], v10, s[10:11] offset:24 glc
	global_load_dwordx2 v[6:7], v10, s[10:11]
	s_waitcnt vmcnt(2)
	v_readfirstlane_b32 s14, v2
	v_readfirstlane_b32 s15, v3
	s_add_u32 s16, s14, 1
	s_addc_u32 s17, s15, 0
	s_add_u32 s4, s16, s6
	s_addc_u32 s5, s17, s7
	s_cmp_eq_u64 s[4:5], 0
	s_cselect_b32 s5, s17, s5
	s_cselect_b32 s4, s16, s4
	s_and_b64 s[6:7], s[4:5], s[14:15]
	s_mul_i32 s7, s7, 24
	s_mul_hi_u32 s14, s6, 24
	s_mul_i32 s6, s6, 24
	s_add_i32 s7, s14, s7
	v_mov_b32_e32 v3, s7
	s_waitcnt vmcnt(0)
	v_add_co_u32_e32 v2, vcc, s6, v6
	v_addc_co_u32_e32 v3, vcc, v7, v3, vcc
	v_mov_b32_e32 v11, s4
	global_store_dwordx2 v[2:3], v[13:14], off
	v_mov_b32_e32 v12, s5
	s_waitcnt vmcnt(0)
	global_atomic_cmpswap_x2 v[8:9], v10, v[11:14], s[10:11] offset:24 glc
	s_mov_b64 s[6:7], 0
	s_waitcnt vmcnt(0)
	v_cmp_ne_u64_e32 vcc, v[8:9], v[13:14]
	s_and_b64 exec, exec, vcc
	s_cbranch_execz .LBB1_278
.LBB1_277:                              ; =>This Inner Loop Header: Depth=1
	s_sleep 1
	global_store_dwordx2 v[2:3], v[8:9], off
	v_mov_b32_e32 v6, s4
	v_mov_b32_e32 v7, s5
	s_waitcnt vmcnt(0)
	global_atomic_cmpswap_x2 v[6:7], v10, v[6:9], s[10:11] offset:24 glc
	s_waitcnt vmcnt(0)
	v_cmp_eq_u64_e32 vcc, v[6:7], v[8:9]
	v_mov_b32_e32 v9, v7
	s_or_b64 s[6:7], vcc, s[6:7]
	v_mov_b32_e32 v8, v6
	s_andn2_b64 exec, exec, s[6:7]
	s_cbranch_execnz .LBB1_277
.LBB1_278:
	s_or_b64 exec, exec, s[12:13]
	v_mov_b32_e32 v7, v5
	s_mov_b64 s[4:5], 0
	v_mov_b32_e32 v6, v4
.LBB1_279:                              ; =>This Inner Loop Header: Depth=1
	global_load_ubyte v8, v[6:7], off
	v_add_co_u32_e32 v2, vcc, 1, v6
	v_addc_co_u32_e32 v3, vcc, 0, v7, vcc
	v_mov_b32_e32 v7, v3
	v_mov_b32_e32 v6, v2
	s_waitcnt vmcnt(0)
	v_cmp_eq_u16_e32 vcc, 0, v8
	s_or_b64 s[4:5], vcc, s[4:5]
	s_andn2_b64 exec, exec, s[4:5]
	s_cbranch_execnz .LBB1_279
; %bb.280:
	s_or_b64 exec, exec, s[4:5]
	v_cmp_ne_u64_e32 vcc, 0, v[4:5]
	s_mov_b64 s[12:13], 0
	s_and_saveexec_b64 s[4:5], vcc
	s_xor_b64 s[6:7], exec, s[4:5]
	s_cbranch_execz .LBB1_366
; %bb.281:
	v_sub_u32_e32 v26, v2, v4
	v_ashrrev_i32_e32 v27, 31, v26
	v_and_b32_e32 v36, 2, v0
	v_mov_b32_e32 v29, 0
	v_and_b32_e32 v0, -3, v0
	s_mov_b32 s22, 0
	s_movk_i32 s23, 0x1e0
	v_mov_b32_e32 v8, 2
	v_mov_b32_e32 v9, 1
	s_branch .LBB1_283
.LBB1_282:                              ;   in Loop: Header=BB1_283 Depth=1
	s_or_b64 exec, exec, s[16:17]
	v_sub_co_u32_e32 v26, vcc, v26, v30
	v_subb_co_u32_e32 v27, vcc, v27, v31, vcc
	v_cmp_eq_u64_e32 vcc, 0, v[26:27]
	s_or_b64 s[12:13], vcc, s[12:13]
	v_add_co_u32_e32 v4, vcc, v4, v30
	v_addc_co_u32_e32 v5, vcc, v5, v31, vcc
	s_andn2_b64 exec, exec, s[12:13]
	s_cbranch_execz .LBB1_365
.LBB1_283:                              ; =>This Loop Header: Depth=1
                                        ;     Child Loop BB1_286 Depth 2
                                        ;     Child Loop BB1_294 Depth 2
	;; [unrolled: 1-line block ×11, first 2 shown]
	v_cmp_gt_u64_e32 vcc, 56, v[26:27]
	v_add_co_u32_e64 v12, s[4:5], 8, v4
	v_cndmask_b32_e32 v31, 0, v27, vcc
	v_cndmask_b32_e32 v30, 56, v26, vcc
	v_cmp_gt_u64_e32 vcc, 8, v[26:27]
	v_addc_co_u32_e64 v13, s[4:5], 0, v5, s[4:5]
	s_and_saveexec_b64 s[4:5], vcc
	s_xor_b64 s[4:5], exec, s[4:5]
	s_cbranch_execz .LBB1_289
; %bb.284:                              ;   in Loop: Header=BB1_283 Depth=1
	v_mov_b32_e32 v2, 0
	v_cmp_ne_u64_e32 vcc, 0, v[26:27]
	v_mov_b32_e32 v3, 0
	s_and_saveexec_b64 s[14:15], vcc
	s_cbranch_execz .LBB1_288
; %bb.285:                              ;   in Loop: Header=BB1_283 Depth=1
	v_lshlrev_b64 v[6:7], 3, v[30:31]
	v_mov_b32_e32 v2, 0
	v_mov_b32_e32 v11, v5
	s_mov_b64 s[16:17], 0
	v_mov_b32_e32 v3, 0
	v_mov_b32_e32 v10, v4
	s_mov_b64 s[18:19], 0
.LBB1_286:                              ;   Parent Loop BB1_283 Depth=1
                                        ; =>  This Inner Loop Header: Depth=2
	global_load_ubyte v7, v[10:11], off
	v_mov_b32_e32 v13, s22
	v_add_co_u32_e32 v10, vcc, 1, v10
	v_addc_co_u32_e32 v11, vcc, 0, v11, vcc
	s_waitcnt vmcnt(0)
	v_and_b32_e32 v12, 0xffff, v7
	v_lshlrev_b64 v[12:13], s18, v[12:13]
	s_add_u32 s18, s18, 8
	s_addc_u32 s19, s19, 0
	v_cmp_eq_u32_e32 vcc, s18, v6
	v_or_b32_e32 v3, v13, v3
	s_or_b64 s[16:17], vcc, s[16:17]
	v_or_b32_e32 v2, v12, v2
	s_andn2_b64 exec, exec, s[16:17]
	s_cbranch_execnz .LBB1_286
; %bb.287:                              ;   in Loop: Header=BB1_283 Depth=1
	s_or_b64 exec, exec, s[16:17]
.LBB1_288:                              ;   in Loop: Header=BB1_283 Depth=1
	s_or_b64 exec, exec, s[14:15]
	v_mov_b32_e32 v13, v5
	v_mov_b32_e32 v12, v4
.LBB1_289:                              ;   in Loop: Header=BB1_283 Depth=1
	s_or_saveexec_b64 s[4:5], s[4:5]
	v_mov_b32_e32 v14, 0
	s_xor_b64 exec, exec, s[4:5]
	s_cbranch_execz .LBB1_291
; %bb.290:                              ;   in Loop: Header=BB1_283 Depth=1
	global_load_dwordx2 v[2:3], v[4:5], off
	v_add_u32_e32 v14, -8, v30
.LBB1_291:                              ;   in Loop: Header=BB1_283 Depth=1
	s_or_b64 exec, exec, s[4:5]
	v_add_co_u32_e64 v6, s[4:5], 8, v12
	v_cmp_gt_u32_e32 vcc, 8, v14
	v_addc_co_u32_e64 v7, s[4:5], 0, v13, s[4:5]
                                        ; implicit-def: $vgpr10_vgpr11
	s_and_saveexec_b64 s[4:5], vcc
	s_xor_b64 s[4:5], exec, s[4:5]
	s_cbranch_execz .LBB1_297
; %bb.292:                              ;   in Loop: Header=BB1_283 Depth=1
	v_mov_b32_e32 v10, 0
	v_mov_b32_e32 v11, 0
	v_cmp_ne_u32_e32 vcc, 0, v14
	s_and_saveexec_b64 s[14:15], vcc
	s_cbranch_execz .LBB1_296
; %bb.293:                              ;   in Loop: Header=BB1_283 Depth=1
	v_mov_b32_e32 v10, 0
	s_mov_b64 s[16:17], 0
	v_mov_b32_e32 v11, 0
	s_mov_b64 s[18:19], 0
	s_mov_b64 s[20:21], 0
.LBB1_294:                              ;   Parent Loop BB1_283 Depth=1
                                        ; =>  This Inner Loop Header: Depth=2
	v_mov_b32_e32 v7, s21
	v_add_co_u32_e32 v6, vcc, s20, v12
	v_addc_co_u32_e32 v7, vcc, v13, v7, vcc
	global_load_ubyte v6, v[6:7], off
	s_add_u32 s20, s20, 1
	v_mov_b32_e32 v7, s22
	s_addc_u32 s21, s21, 0
	v_cmp_eq_u32_e32 vcc, s20, v14
	s_waitcnt vmcnt(0)
	v_and_b32_e32 v6, 0xffff, v6
	v_lshlrev_b64 v[6:7], s18, v[6:7]
	s_add_u32 s18, s18, 8
	s_addc_u32 s19, s19, 0
	v_or_b32_e32 v11, v7, v11
	s_or_b64 s[16:17], vcc, s[16:17]
	v_or_b32_e32 v10, v6, v10
	s_andn2_b64 exec, exec, s[16:17]
	s_cbranch_execnz .LBB1_294
; %bb.295:                              ;   in Loop: Header=BB1_283 Depth=1
	s_or_b64 exec, exec, s[16:17]
.LBB1_296:                              ;   in Loop: Header=BB1_283 Depth=1
	s_or_b64 exec, exec, s[14:15]
	v_mov_b32_e32 v6, v12
	v_mov_b32_e32 v7, v13
                                        ; implicit-def: $vgpr14
.LBB1_297:                              ;   in Loop: Header=BB1_283 Depth=1
	s_or_saveexec_b64 s[4:5], s[4:5]
	v_mov_b32_e32 v15, 0
	s_xor_b64 exec, exec, s[4:5]
	s_cbranch_execz .LBB1_299
; %bb.298:                              ;   in Loop: Header=BB1_283 Depth=1
	global_load_dwordx2 v[10:11], v[12:13], off
	v_add_u32_e32 v15, -8, v14
.LBB1_299:                              ;   in Loop: Header=BB1_283 Depth=1
	s_or_b64 exec, exec, s[4:5]
	v_add_co_u32_e64 v16, s[4:5], 8, v6
	v_cmp_gt_u32_e32 vcc, 8, v15
	v_addc_co_u32_e64 v17, s[4:5], 0, v7, s[4:5]
	s_and_saveexec_b64 s[4:5], vcc
	s_xor_b64 s[4:5], exec, s[4:5]
	s_cbranch_execz .LBB1_305
; %bb.300:                              ;   in Loop: Header=BB1_283 Depth=1
	v_mov_b32_e32 v12, 0
	v_mov_b32_e32 v13, 0
	v_cmp_ne_u32_e32 vcc, 0, v15
	s_and_saveexec_b64 s[14:15], vcc
	s_cbranch_execz .LBB1_304
; %bb.301:                              ;   in Loop: Header=BB1_283 Depth=1
	v_mov_b32_e32 v12, 0
	s_mov_b64 s[16:17], 0
	v_mov_b32_e32 v13, 0
	s_mov_b64 s[18:19], 0
	s_mov_b64 s[20:21], 0
.LBB1_302:                              ;   Parent Loop BB1_283 Depth=1
                                        ; =>  This Inner Loop Header: Depth=2
	v_mov_b32_e32 v14, s21
	v_add_co_u32_e32 v16, vcc, s20, v6
	v_addc_co_u32_e32 v17, vcc, v7, v14, vcc
	global_load_ubyte v14, v[16:17], off
	s_add_u32 s20, s20, 1
	v_mov_b32_e32 v17, s22
	s_addc_u32 s21, s21, 0
	v_cmp_eq_u32_e32 vcc, s20, v15
	s_waitcnt vmcnt(0)
	v_and_b32_e32 v16, 0xffff, v14
	v_lshlrev_b64 v[16:17], s18, v[16:17]
	s_add_u32 s18, s18, 8
	s_addc_u32 s19, s19, 0
	v_or_b32_e32 v13, v17, v13
	s_or_b64 s[16:17], vcc, s[16:17]
	v_or_b32_e32 v12, v16, v12
	s_andn2_b64 exec, exec, s[16:17]
	s_cbranch_execnz .LBB1_302
; %bb.303:                              ;   in Loop: Header=BB1_283 Depth=1
	s_or_b64 exec, exec, s[16:17]
.LBB1_304:                              ;   in Loop: Header=BB1_283 Depth=1
	s_or_b64 exec, exec, s[14:15]
	v_mov_b32_e32 v17, v7
	v_mov_b32_e32 v16, v6
                                        ; implicit-def: $vgpr15
.LBB1_305:                              ;   in Loop: Header=BB1_283 Depth=1
	s_or_saveexec_b64 s[4:5], s[4:5]
	v_mov_b32_e32 v18, 0
	s_xor_b64 exec, exec, s[4:5]
	s_cbranch_execz .LBB1_307
; %bb.306:                              ;   in Loop: Header=BB1_283 Depth=1
	global_load_dwordx2 v[12:13], v[6:7], off
	v_add_u32_e32 v18, -8, v15
.LBB1_307:                              ;   in Loop: Header=BB1_283 Depth=1
	s_or_b64 exec, exec, s[4:5]
	v_add_co_u32_e64 v6, s[4:5], 8, v16
	v_cmp_gt_u32_e32 vcc, 8, v18
	v_addc_co_u32_e64 v7, s[4:5], 0, v17, s[4:5]
                                        ; implicit-def: $vgpr14_vgpr15
	s_and_saveexec_b64 s[4:5], vcc
	s_xor_b64 s[4:5], exec, s[4:5]
	s_cbranch_execz .LBB1_313
; %bb.308:                              ;   in Loop: Header=BB1_283 Depth=1
	v_mov_b32_e32 v14, 0
	v_mov_b32_e32 v15, 0
	v_cmp_ne_u32_e32 vcc, 0, v18
	s_and_saveexec_b64 s[14:15], vcc
	s_cbranch_execz .LBB1_312
; %bb.309:                              ;   in Loop: Header=BB1_283 Depth=1
	v_mov_b32_e32 v14, 0
	s_mov_b64 s[16:17], 0
	v_mov_b32_e32 v15, 0
	s_mov_b64 s[18:19], 0
	s_mov_b64 s[20:21], 0
.LBB1_310:                              ;   Parent Loop BB1_283 Depth=1
                                        ; =>  This Inner Loop Header: Depth=2
	v_mov_b32_e32 v7, s21
	v_add_co_u32_e32 v6, vcc, s20, v16
	v_addc_co_u32_e32 v7, vcc, v17, v7, vcc
	global_load_ubyte v6, v[6:7], off
	s_add_u32 s20, s20, 1
	v_mov_b32_e32 v7, s22
	s_addc_u32 s21, s21, 0
	v_cmp_eq_u32_e32 vcc, s20, v18
	s_waitcnt vmcnt(0)
	v_and_b32_e32 v6, 0xffff, v6
	v_lshlrev_b64 v[6:7], s18, v[6:7]
	s_add_u32 s18, s18, 8
	s_addc_u32 s19, s19, 0
	v_or_b32_e32 v15, v7, v15
	s_or_b64 s[16:17], vcc, s[16:17]
	v_or_b32_e32 v14, v6, v14
	s_andn2_b64 exec, exec, s[16:17]
	s_cbranch_execnz .LBB1_310
; %bb.311:                              ;   in Loop: Header=BB1_283 Depth=1
	s_or_b64 exec, exec, s[16:17]
.LBB1_312:                              ;   in Loop: Header=BB1_283 Depth=1
	s_or_b64 exec, exec, s[14:15]
	v_mov_b32_e32 v6, v16
	v_mov_b32_e32 v7, v17
                                        ; implicit-def: $vgpr18
.LBB1_313:                              ;   in Loop: Header=BB1_283 Depth=1
	s_or_saveexec_b64 s[4:5], s[4:5]
	v_mov_b32_e32 v19, 0
	s_xor_b64 exec, exec, s[4:5]
	s_cbranch_execz .LBB1_315
; %bb.314:                              ;   in Loop: Header=BB1_283 Depth=1
	global_load_dwordx2 v[14:15], v[16:17], off
	v_add_u32_e32 v19, -8, v18
.LBB1_315:                              ;   in Loop: Header=BB1_283 Depth=1
	s_or_b64 exec, exec, s[4:5]
	v_add_co_u32_e64 v20, s[4:5], 8, v6
	v_cmp_gt_u32_e32 vcc, 8, v19
	v_addc_co_u32_e64 v21, s[4:5], 0, v7, s[4:5]
	s_and_saveexec_b64 s[4:5], vcc
	s_xor_b64 s[4:5], exec, s[4:5]
	s_cbranch_execz .LBB1_321
; %bb.316:                              ;   in Loop: Header=BB1_283 Depth=1
	v_mov_b32_e32 v16, 0
	v_mov_b32_e32 v17, 0
	v_cmp_ne_u32_e32 vcc, 0, v19
	s_and_saveexec_b64 s[14:15], vcc
	s_cbranch_execz .LBB1_320
; %bb.317:                              ;   in Loop: Header=BB1_283 Depth=1
	v_mov_b32_e32 v16, 0
	s_mov_b64 s[16:17], 0
	v_mov_b32_e32 v17, 0
	s_mov_b64 s[18:19], 0
	s_mov_b64 s[20:21], 0
.LBB1_318:                              ;   Parent Loop BB1_283 Depth=1
                                        ; =>  This Inner Loop Header: Depth=2
	v_mov_b32_e32 v18, s21
	v_add_co_u32_e32 v20, vcc, s20, v6
	v_addc_co_u32_e32 v21, vcc, v7, v18, vcc
	global_load_ubyte v18, v[20:21], off
	s_add_u32 s20, s20, 1
	v_mov_b32_e32 v21, s22
	s_addc_u32 s21, s21, 0
	v_cmp_eq_u32_e32 vcc, s20, v19
	s_waitcnt vmcnt(0)
	v_and_b32_e32 v20, 0xffff, v18
	v_lshlrev_b64 v[20:21], s18, v[20:21]
	s_add_u32 s18, s18, 8
	s_addc_u32 s19, s19, 0
	v_or_b32_e32 v17, v21, v17
	s_or_b64 s[16:17], vcc, s[16:17]
	v_or_b32_e32 v16, v20, v16
	s_andn2_b64 exec, exec, s[16:17]
	s_cbranch_execnz .LBB1_318
; %bb.319:                              ;   in Loop: Header=BB1_283 Depth=1
	s_or_b64 exec, exec, s[16:17]
.LBB1_320:                              ;   in Loop: Header=BB1_283 Depth=1
	s_or_b64 exec, exec, s[14:15]
	v_mov_b32_e32 v21, v7
	v_mov_b32_e32 v20, v6
                                        ; implicit-def: $vgpr19
.LBB1_321:                              ;   in Loop: Header=BB1_283 Depth=1
	s_or_saveexec_b64 s[4:5], s[4:5]
	v_mov_b32_e32 v22, 0
	s_xor_b64 exec, exec, s[4:5]
	s_cbranch_execz .LBB1_323
; %bb.322:                              ;   in Loop: Header=BB1_283 Depth=1
	global_load_dwordx2 v[16:17], v[6:7], off
	v_add_u32_e32 v22, -8, v19
.LBB1_323:                              ;   in Loop: Header=BB1_283 Depth=1
	s_or_b64 exec, exec, s[4:5]
	v_add_co_u32_e64 v6, s[4:5], 8, v20
	v_cmp_gt_u32_e32 vcc, 8, v22
	v_addc_co_u32_e64 v7, s[4:5], 0, v21, s[4:5]
                                        ; implicit-def: $vgpr18_vgpr19
	s_and_saveexec_b64 s[4:5], vcc
	s_xor_b64 s[4:5], exec, s[4:5]
	s_cbranch_execz .LBB1_329
; %bb.324:                              ;   in Loop: Header=BB1_283 Depth=1
	v_mov_b32_e32 v18, 0
	v_mov_b32_e32 v19, 0
	v_cmp_ne_u32_e32 vcc, 0, v22
	s_and_saveexec_b64 s[14:15], vcc
	s_cbranch_execz .LBB1_328
; %bb.325:                              ;   in Loop: Header=BB1_283 Depth=1
	v_mov_b32_e32 v18, 0
	s_mov_b64 s[16:17], 0
	v_mov_b32_e32 v19, 0
	s_mov_b64 s[18:19], 0
	s_mov_b64 s[20:21], 0
.LBB1_326:                              ;   Parent Loop BB1_283 Depth=1
                                        ; =>  This Inner Loop Header: Depth=2
	v_mov_b32_e32 v7, s21
	v_add_co_u32_e32 v6, vcc, s20, v20
	v_addc_co_u32_e32 v7, vcc, v21, v7, vcc
	global_load_ubyte v6, v[6:7], off
	s_add_u32 s20, s20, 1
	v_mov_b32_e32 v7, s22
	s_addc_u32 s21, s21, 0
	v_cmp_eq_u32_e32 vcc, s20, v22
	s_waitcnt vmcnt(0)
	v_and_b32_e32 v6, 0xffff, v6
	v_lshlrev_b64 v[6:7], s18, v[6:7]
	s_add_u32 s18, s18, 8
	s_addc_u32 s19, s19, 0
	v_or_b32_e32 v19, v7, v19
	s_or_b64 s[16:17], vcc, s[16:17]
	v_or_b32_e32 v18, v6, v18
	s_andn2_b64 exec, exec, s[16:17]
	s_cbranch_execnz .LBB1_326
; %bb.327:                              ;   in Loop: Header=BB1_283 Depth=1
	s_or_b64 exec, exec, s[16:17]
.LBB1_328:                              ;   in Loop: Header=BB1_283 Depth=1
	s_or_b64 exec, exec, s[14:15]
	v_mov_b32_e32 v6, v20
	v_mov_b32_e32 v7, v21
                                        ; implicit-def: $vgpr22
.LBB1_329:                              ;   in Loop: Header=BB1_283 Depth=1
	s_or_saveexec_b64 s[4:5], s[4:5]
	v_mov_b32_e32 v23, 0
	s_xor_b64 exec, exec, s[4:5]
	s_cbranch_execz .LBB1_331
; %bb.330:                              ;   in Loop: Header=BB1_283 Depth=1
	global_load_dwordx2 v[18:19], v[20:21], off
	v_add_u32_e32 v23, -8, v22
.LBB1_331:                              ;   in Loop: Header=BB1_283 Depth=1
	s_or_b64 exec, exec, s[4:5]
	v_cmp_gt_u32_e32 vcc, 8, v23
	s_and_saveexec_b64 s[4:5], vcc
	s_xor_b64 s[4:5], exec, s[4:5]
	s_cbranch_execz .LBB1_337
; %bb.332:                              ;   in Loop: Header=BB1_283 Depth=1
	v_mov_b32_e32 v20, 0
	v_mov_b32_e32 v21, 0
	v_cmp_ne_u32_e32 vcc, 0, v23
	s_and_saveexec_b64 s[14:15], vcc
	s_cbranch_execz .LBB1_336
; %bb.333:                              ;   in Loop: Header=BB1_283 Depth=1
	v_mov_b32_e32 v20, 0
	s_mov_b64 s[16:17], 0
	v_mov_b32_e32 v21, 0
	s_mov_b64 s[18:19], 0
.LBB1_334:                              ;   Parent Loop BB1_283 Depth=1
                                        ; =>  This Inner Loop Header: Depth=2
	global_load_ubyte v22, v[6:7], off
	v_mov_b32_e32 v25, s22
	v_add_co_u32_e32 v6, vcc, 1, v6
	v_add_u32_e32 v23, -1, v23
	v_addc_co_u32_e32 v7, vcc, 0, v7, vcc
	v_cmp_eq_u32_e32 vcc, 0, v23
	s_waitcnt vmcnt(0)
	v_and_b32_e32 v24, 0xffff, v22
	v_lshlrev_b64 v[24:25], s18, v[24:25]
	s_add_u32 s18, s18, 8
	s_addc_u32 s19, s19, 0
	v_or_b32_e32 v21, v25, v21
	s_or_b64 s[16:17], vcc, s[16:17]
	v_or_b32_e32 v20, v24, v20
	s_andn2_b64 exec, exec, s[16:17]
	s_cbranch_execnz .LBB1_334
; %bb.335:                              ;   in Loop: Header=BB1_283 Depth=1
	s_or_b64 exec, exec, s[16:17]
.LBB1_336:                              ;   in Loop: Header=BB1_283 Depth=1
	s_or_b64 exec, exec, s[14:15]
                                        ; implicit-def: $vgpr6_vgpr7
.LBB1_337:                              ;   in Loop: Header=BB1_283 Depth=1
	s_andn2_saveexec_b64 s[4:5], s[4:5]
	s_cbranch_execz .LBB1_339
; %bb.338:                              ;   in Loop: Header=BB1_283 Depth=1
	global_load_dwordx2 v[20:21], v[6:7], off
.LBB1_339:                              ;   in Loop: Header=BB1_283 Depth=1
	s_or_b64 exec, exec, s[4:5]
	v_readfirstlane_b32 s4, v34
	v_mov_b32_e32 v6, 0
	v_mov_b32_e32 v7, 0
	v_cmp_eq_u32_e64 s[4:5], s4, v34
	s_and_saveexec_b64 s[14:15], s[4:5]
	s_cbranch_execz .LBB1_345
; %bb.340:                              ;   in Loop: Header=BB1_283 Depth=1
	global_load_dwordx2 v[24:25], v29, s[10:11] offset:24 glc
	s_waitcnt vmcnt(0)
	buffer_wbinvl1_vol
	global_load_dwordx2 v[6:7], v29, s[10:11] offset:40
	global_load_dwordx2 v[22:23], v29, s[10:11]
	s_waitcnt vmcnt(1)
	v_and_b32_e32 v6, v6, v24
	v_and_b32_e32 v7, v7, v25
	v_mul_lo_u32 v7, v7, 24
	v_mul_hi_u32 v28, v6, 24
	v_mul_lo_u32 v6, v6, 24
	v_add_u32_e32 v7, v28, v7
	s_waitcnt vmcnt(0)
	v_add_co_u32_e32 v6, vcc, v22, v6
	v_addc_co_u32_e32 v7, vcc, v23, v7, vcc
	global_load_dwordx2 v[22:23], v[6:7], off glc
	s_waitcnt vmcnt(0)
	global_atomic_cmpswap_x2 v[6:7], v29, v[22:25], s[10:11] offset:24 glc
	s_waitcnt vmcnt(0)
	buffer_wbinvl1_vol
	v_cmp_ne_u64_e32 vcc, v[6:7], v[24:25]
	s_and_saveexec_b64 s[16:17], vcc
	s_cbranch_execz .LBB1_344
; %bb.341:                              ;   in Loop: Header=BB1_283 Depth=1
	s_mov_b64 s[18:19], 0
.LBB1_342:                              ;   Parent Loop BB1_283 Depth=1
                                        ; =>  This Inner Loop Header: Depth=2
	s_sleep 1
	global_load_dwordx2 v[22:23], v29, s[10:11] offset:40
	global_load_dwordx2 v[32:33], v29, s[10:11]
	v_mov_b32_e32 v25, v7
	v_mov_b32_e32 v24, v6
	s_waitcnt vmcnt(1)
	v_and_b32_e32 v6, v22, v24
	s_waitcnt vmcnt(0)
	v_mad_u64_u32 v[6:7], s[20:21], v6, 24, v[32:33]
	v_and_b32_e32 v22, v23, v25
	v_mad_u64_u32 v[22:23], s[20:21], v22, 24, v[7:8]
	v_mov_b32_e32 v7, v22
	global_load_dwordx2 v[22:23], v[6:7], off glc
	s_waitcnt vmcnt(0)
	global_atomic_cmpswap_x2 v[6:7], v29, v[22:25], s[10:11] offset:24 glc
	s_waitcnt vmcnt(0)
	buffer_wbinvl1_vol
	v_cmp_eq_u64_e32 vcc, v[6:7], v[24:25]
	s_or_b64 s[18:19], vcc, s[18:19]
	s_andn2_b64 exec, exec, s[18:19]
	s_cbranch_execnz .LBB1_342
; %bb.343:                              ;   in Loop: Header=BB1_283 Depth=1
	s_or_b64 exec, exec, s[18:19]
.LBB1_344:                              ;   in Loop: Header=BB1_283 Depth=1
	s_or_b64 exec, exec, s[16:17]
.LBB1_345:                              ;   in Loop: Header=BB1_283 Depth=1
	s_or_b64 exec, exec, s[14:15]
	global_load_dwordx2 v[32:33], v29, s[10:11] offset:40
	global_load_dwordx4 v[22:25], v29, s[10:11]
	v_readfirstlane_b32 s15, v7
	v_readfirstlane_b32 s14, v6
	s_mov_b64 s[16:17], exec
	s_waitcnt vmcnt(1)
	v_readfirstlane_b32 s18, v32
	v_readfirstlane_b32 s19, v33
	s_and_b64 s[18:19], s[18:19], s[14:15]
	s_mul_i32 s20, s19, 24
	s_mul_hi_u32 s21, s18, 24
	s_mul_i32 s24, s18, 24
	s_add_i32 s20, s21, s20
	v_mov_b32_e32 v6, s20
	s_waitcnt vmcnt(0)
	v_add_co_u32_e32 v32, vcc, s24, v22
	v_addc_co_u32_e32 v33, vcc, v23, v6, vcc
	s_and_saveexec_b64 s[20:21], s[4:5]
	s_cbranch_execz .LBB1_347
; %bb.346:                              ;   in Loop: Header=BB1_283 Depth=1
	v_mov_b32_e32 v6, s16
	v_mov_b32_e32 v7, s17
	global_store_dwordx4 v[32:33], v[6:9], off offset:8
.LBB1_347:                              ;   in Loop: Header=BB1_283 Depth=1
	s_or_b64 exec, exec, s[20:21]
	s_lshl_b64 s[16:17], s[18:19], 12
	v_mov_b32_e32 v6, s17
	v_add_co_u32_e32 v24, vcc, s16, v24
	v_addc_co_u32_e32 v25, vcc, v25, v6, vcc
	v_cmp_gt_u64_e32 vcc, 57, v[26:27]
	v_and_b32_e32 v0, 0xffffff1f, v0
	v_cndmask_b32_e32 v6, 0, v36, vcc
	v_lshl_add_u32 v7, v30, 2, 28
	v_or_b32_e32 v0, v0, v6
	v_and_or_b32 v0, v7, s23, v0
	v_readfirstlane_b32 s16, v24
	v_readfirstlane_b32 s17, v25
	s_nop 4
	global_store_dwordx4 v35, v[0:3], s[16:17]
	global_store_dwordx4 v35, v[10:13], s[16:17] offset:16
	global_store_dwordx4 v35, v[14:17], s[16:17] offset:32
	;; [unrolled: 1-line block ×3, first 2 shown]
	s_and_saveexec_b64 s[16:17], s[4:5]
	s_cbranch_execz .LBB1_355
; %bb.348:                              ;   in Loop: Header=BB1_283 Depth=1
	global_load_dwordx2 v[12:13], v29, s[10:11] offset:32 glc
	global_load_dwordx2 v[0:1], v29, s[10:11] offset:40
	v_mov_b32_e32 v10, s14
	v_mov_b32_e32 v11, s15
	s_waitcnt vmcnt(0)
	v_readfirstlane_b32 s18, v0
	v_readfirstlane_b32 s19, v1
	s_and_b64 s[18:19], s[18:19], s[14:15]
	s_mul_i32 s19, s19, 24
	s_mul_hi_u32 s20, s18, 24
	s_mul_i32 s18, s18, 24
	s_add_i32 s19, s20, s19
	v_mov_b32_e32 v0, s19
	v_add_co_u32_e32 v6, vcc, s18, v22
	v_addc_co_u32_e32 v7, vcc, v23, v0, vcc
	global_store_dwordx2 v[6:7], v[12:13], off
	s_waitcnt vmcnt(0)
	global_atomic_cmpswap_x2 v[2:3], v29, v[10:13], s[10:11] offset:32 glc
	s_waitcnt vmcnt(0)
	v_cmp_ne_u64_e32 vcc, v[2:3], v[12:13]
	s_and_saveexec_b64 s[18:19], vcc
	s_cbranch_execz .LBB1_351
; %bb.349:                              ;   in Loop: Header=BB1_283 Depth=1
	s_mov_b64 s[20:21], 0
.LBB1_350:                              ;   Parent Loop BB1_283 Depth=1
                                        ; =>  This Inner Loop Header: Depth=2
	s_sleep 1
	global_store_dwordx2 v[6:7], v[2:3], off
	v_mov_b32_e32 v0, s14
	v_mov_b32_e32 v1, s15
	s_waitcnt vmcnt(0)
	global_atomic_cmpswap_x2 v[0:1], v29, v[0:3], s[10:11] offset:32 glc
	s_waitcnt vmcnt(0)
	v_cmp_eq_u64_e32 vcc, v[0:1], v[2:3]
	v_mov_b32_e32 v3, v1
	s_or_b64 s[20:21], vcc, s[20:21]
	v_mov_b32_e32 v2, v0
	s_andn2_b64 exec, exec, s[20:21]
	s_cbranch_execnz .LBB1_350
.LBB1_351:                              ;   in Loop: Header=BB1_283 Depth=1
	s_or_b64 exec, exec, s[18:19]
	global_load_dwordx2 v[0:1], v29, s[10:11] offset:16
	s_mov_b64 s[20:21], exec
	v_mbcnt_lo_u32_b32 v2, s20, 0
	v_mbcnt_hi_u32_b32 v2, s21, v2
	v_cmp_eq_u32_e32 vcc, 0, v2
	s_and_saveexec_b64 s[18:19], vcc
	s_cbranch_execz .LBB1_353
; %bb.352:                              ;   in Loop: Header=BB1_283 Depth=1
	s_bcnt1_i32_b64 s20, s[20:21]
	v_mov_b32_e32 v28, s20
	s_waitcnt vmcnt(0)
	global_atomic_add_x2 v[0:1], v[28:29], off offset:8
.LBB1_353:                              ;   in Loop: Header=BB1_283 Depth=1
	s_or_b64 exec, exec, s[18:19]
	s_waitcnt vmcnt(0)
	global_load_dwordx2 v[2:3], v[0:1], off offset:16
	s_waitcnt vmcnt(0)
	v_cmp_eq_u64_e32 vcc, 0, v[2:3]
	s_cbranch_vccnz .LBB1_355
; %bb.354:                              ;   in Loop: Header=BB1_283 Depth=1
	global_load_dword v28, v[0:1], off offset:24
	s_waitcnt vmcnt(0)
	v_readfirstlane_b32 s18, v28
	s_and_b32 m0, s18, 0xffffff
	global_store_dwordx2 v[2:3], v[28:29], off
	s_sendmsg sendmsg(MSG_INTERRUPT)
.LBB1_355:                              ;   in Loop: Header=BB1_283 Depth=1
	s_or_b64 exec, exec, s[16:17]
	v_add_co_u32_e32 v0, vcc, v24, v35
	v_addc_co_u32_e32 v1, vcc, 0, v25, vcc
	s_branch .LBB1_359
.LBB1_356:                              ;   in Loop: Header=BB1_359 Depth=2
	s_or_b64 exec, exec, s[16:17]
	v_readfirstlane_b32 s16, v2
	s_cmp_eq_u32 s16, 0
	s_cbranch_scc1 .LBB1_358
; %bb.357:                              ;   in Loop: Header=BB1_359 Depth=2
	s_sleep 1
	s_cbranch_execnz .LBB1_359
	s_branch .LBB1_361
.LBB1_358:                              ;   in Loop: Header=BB1_283 Depth=1
	s_branch .LBB1_361
.LBB1_359:                              ;   Parent Loop BB1_283 Depth=1
                                        ; =>  This Inner Loop Header: Depth=2
	v_mov_b32_e32 v2, 1
	s_and_saveexec_b64 s[16:17], s[4:5]
	s_cbranch_execz .LBB1_356
; %bb.360:                              ;   in Loop: Header=BB1_359 Depth=2
	global_load_dword v2, v[32:33], off offset:20 glc
	s_waitcnt vmcnt(0)
	buffer_wbinvl1_vol
	v_and_b32_e32 v2, 1, v2
	s_branch .LBB1_356
.LBB1_361:                              ;   in Loop: Header=BB1_283 Depth=1
	global_load_dwordx2 v[0:1], v[0:1], off
	s_and_saveexec_b64 s[16:17], s[4:5]
	s_cbranch_execz .LBB1_282
; %bb.362:                              ;   in Loop: Header=BB1_283 Depth=1
	global_load_dwordx2 v[2:3], v29, s[10:11] offset:40
	global_load_dwordx2 v[14:15], v29, s[10:11] offset:24 glc
	global_load_dwordx2 v[6:7], v29, s[10:11]
	s_waitcnt vmcnt(2)
	v_readfirstlane_b32 s18, v2
	v_readfirstlane_b32 s19, v3
	s_add_u32 s20, s18, 1
	s_addc_u32 s21, s19, 0
	s_add_u32 s4, s20, s14
	s_addc_u32 s5, s21, s15
	s_cmp_eq_u64 s[4:5], 0
	s_cselect_b32 s5, s21, s5
	s_cselect_b32 s4, s20, s4
	s_and_b64 s[14:15], s[4:5], s[18:19]
	s_mul_i32 s15, s15, 24
	s_mul_hi_u32 s18, s14, 24
	s_mul_i32 s14, s14, 24
	s_add_i32 s15, s18, s15
	v_mov_b32_e32 v3, s15
	s_waitcnt vmcnt(0)
	v_add_co_u32_e32 v2, vcc, s14, v6
	v_addc_co_u32_e32 v3, vcc, v7, v3, vcc
	v_mov_b32_e32 v12, s4
	global_store_dwordx2 v[2:3], v[14:15], off
	v_mov_b32_e32 v13, s5
	s_waitcnt vmcnt(0)
	global_atomic_cmpswap_x2 v[12:13], v29, v[12:15], s[10:11] offset:24 glc
	s_waitcnt vmcnt(0)
	v_cmp_ne_u64_e32 vcc, v[12:13], v[14:15]
	s_and_b64 exec, exec, vcc
	s_cbranch_execz .LBB1_282
; %bb.363:                              ;   in Loop: Header=BB1_283 Depth=1
	s_mov_b64 s[14:15], 0
.LBB1_364:                              ;   Parent Loop BB1_283 Depth=1
                                        ; =>  This Inner Loop Header: Depth=2
	s_sleep 1
	global_store_dwordx2 v[2:3], v[12:13], off
	v_mov_b32_e32 v10, s4
	v_mov_b32_e32 v11, s5
	s_waitcnt vmcnt(0)
	global_atomic_cmpswap_x2 v[6:7], v29, v[10:13], s[10:11] offset:24 glc
	s_waitcnt vmcnt(0)
	v_cmp_eq_u64_e32 vcc, v[6:7], v[12:13]
	v_mov_b32_e32 v13, v7
	s_or_b64 s[14:15], vcc, s[14:15]
	v_mov_b32_e32 v12, v6
	s_andn2_b64 exec, exec, s[14:15]
	s_cbranch_execnz .LBB1_364
	s_branch .LBB1_282
.LBB1_365:
	s_or_b64 exec, exec, s[12:13]
                                        ; implicit-def: $vgpr35
                                        ; implicit-def: $vgpr34
.LBB1_366:
	s_andn2_saveexec_b64 s[6:7], s[6:7]
	s_cbranch_execz .LBB1_393
; %bb.367:
	v_readfirstlane_b32 s4, v34
	v_mov_b32_e32 v8, 0
	v_mov_b32_e32 v9, 0
	v_cmp_eq_u32_e64 s[4:5], s4, v34
	s_and_saveexec_b64 s[12:13], s[4:5]
	s_cbranch_execz .LBB1_373
; %bb.368:
	v_mov_b32_e32 v2, 0
	global_load_dwordx2 v[5:6], v2, s[10:11] offset:24 glc
	s_waitcnt vmcnt(0)
	buffer_wbinvl1_vol
	global_load_dwordx2 v[3:4], v2, s[10:11] offset:40
	global_load_dwordx2 v[7:8], v2, s[10:11]
	s_waitcnt vmcnt(1)
	v_and_b32_e32 v3, v3, v5
	v_and_b32_e32 v4, v4, v6
	v_mul_lo_u32 v4, v4, 24
	v_mul_hi_u32 v9, v3, 24
	v_mul_lo_u32 v3, v3, 24
	v_add_u32_e32 v4, v9, v4
	s_waitcnt vmcnt(0)
	v_add_co_u32_e32 v3, vcc, v7, v3
	v_addc_co_u32_e32 v4, vcc, v8, v4, vcc
	global_load_dwordx2 v[3:4], v[3:4], off glc
	s_waitcnt vmcnt(0)
	global_atomic_cmpswap_x2 v[8:9], v2, v[3:6], s[10:11] offset:24 glc
	s_waitcnt vmcnt(0)
	buffer_wbinvl1_vol
	v_cmp_ne_u64_e32 vcc, v[8:9], v[5:6]
	s_and_saveexec_b64 s[14:15], vcc
	s_cbranch_execz .LBB1_372
; %bb.369:
	s_mov_b64 s[16:17], 0
.LBB1_370:                              ; =>This Inner Loop Header: Depth=1
	s_sleep 1
	global_load_dwordx2 v[3:4], v2, s[10:11] offset:40
	global_load_dwordx2 v[10:11], v2, s[10:11]
	v_mov_b32_e32 v5, v8
	v_mov_b32_e32 v6, v9
	s_waitcnt vmcnt(1)
	v_and_b32_e32 v3, v3, v5
	s_waitcnt vmcnt(0)
	v_mad_u64_u32 v[7:8], s[18:19], v3, 24, v[10:11]
	v_and_b32_e32 v4, v4, v6
	v_mov_b32_e32 v3, v8
	v_mad_u64_u32 v[3:4], s[18:19], v4, 24, v[3:4]
	v_mov_b32_e32 v8, v3
	global_load_dwordx2 v[3:4], v[7:8], off glc
	s_waitcnt vmcnt(0)
	global_atomic_cmpswap_x2 v[8:9], v2, v[3:6], s[10:11] offset:24 glc
	s_waitcnt vmcnt(0)
	buffer_wbinvl1_vol
	v_cmp_eq_u64_e32 vcc, v[8:9], v[5:6]
	s_or_b64 s[16:17], vcc, s[16:17]
	s_andn2_b64 exec, exec, s[16:17]
	s_cbranch_execnz .LBB1_370
; %bb.371:
	s_or_b64 exec, exec, s[16:17]
.LBB1_372:
	s_or_b64 exec, exec, s[14:15]
.LBB1_373:
	s_or_b64 exec, exec, s[12:13]
	v_mov_b32_e32 v2, 0
	global_load_dwordx2 v[10:11], v2, s[10:11] offset:40
	global_load_dwordx4 v[4:7], v2, s[10:11]
	v_readfirstlane_b32 s13, v9
	v_readfirstlane_b32 s12, v8
	s_mov_b64 s[14:15], exec
	s_waitcnt vmcnt(1)
	v_readfirstlane_b32 s16, v10
	v_readfirstlane_b32 s17, v11
	s_and_b64 s[16:17], s[16:17], s[12:13]
	s_mul_i32 s18, s17, 24
	s_mul_hi_u32 s19, s16, 24
	s_mul_i32 s20, s16, 24
	s_add_i32 s18, s19, s18
	v_mov_b32_e32 v3, s18
	s_waitcnt vmcnt(0)
	v_add_co_u32_e32 v8, vcc, s20, v4
	v_addc_co_u32_e32 v9, vcc, v5, v3, vcc
	s_and_saveexec_b64 s[18:19], s[4:5]
	s_cbranch_execz .LBB1_375
; %bb.374:
	v_mov_b32_e32 v10, s14
	v_mov_b32_e32 v11, s15
	;; [unrolled: 1-line block ×4, first 2 shown]
	global_store_dwordx4 v[8:9], v[10:13], off offset:8
.LBB1_375:
	s_or_b64 exec, exec, s[18:19]
	s_lshl_b64 s[14:15], s[16:17], 12
	v_mov_b32_e32 v3, s15
	v_add_co_u32_e32 v10, vcc, s14, v6
	v_addc_co_u32_e32 v11, vcc, v7, v3, vcc
	s_movk_i32 s14, 0xff1f
	v_and_or_b32 v0, v0, s14, 32
	s_mov_b32 s16, 0
	v_mov_b32_e32 v3, v2
	v_readfirstlane_b32 s14, v10
	v_readfirstlane_b32 s15, v11
	v_add_co_u32_e32 v6, vcc, v10, v35
	s_mov_b32 s17, s16
	s_mov_b32 s18, s16
	s_mov_b32 s19, s16
	s_nop 0
	global_store_dwordx4 v35, v[0:3], s[14:15]
	v_addc_co_u32_e32 v7, vcc, 0, v11, vcc
	v_mov_b32_e32 v0, s16
	v_mov_b32_e32 v1, s17
	;; [unrolled: 1-line block ×4, first 2 shown]
	global_store_dwordx4 v35, v[0:3], s[14:15] offset:16
	global_store_dwordx4 v35, v[0:3], s[14:15] offset:32
	;; [unrolled: 1-line block ×3, first 2 shown]
	s_and_saveexec_b64 s[14:15], s[4:5]
	s_cbranch_execz .LBB1_383
; %bb.376:
	v_mov_b32_e32 v10, 0
	global_load_dwordx2 v[13:14], v10, s[10:11] offset:32 glc
	global_load_dwordx2 v[0:1], v10, s[10:11] offset:40
	v_mov_b32_e32 v11, s12
	v_mov_b32_e32 v12, s13
	s_waitcnt vmcnt(0)
	v_readfirstlane_b32 s16, v0
	v_readfirstlane_b32 s17, v1
	s_and_b64 s[16:17], s[16:17], s[12:13]
	s_mul_i32 s17, s17, 24
	s_mul_hi_u32 s18, s16, 24
	s_mul_i32 s16, s16, 24
	s_add_i32 s17, s18, s17
	v_mov_b32_e32 v0, s17
	v_add_co_u32_e32 v4, vcc, s16, v4
	v_addc_co_u32_e32 v5, vcc, v5, v0, vcc
	global_store_dwordx2 v[4:5], v[13:14], off
	s_waitcnt vmcnt(0)
	global_atomic_cmpswap_x2 v[2:3], v10, v[11:14], s[10:11] offset:32 glc
	s_waitcnt vmcnt(0)
	v_cmp_ne_u64_e32 vcc, v[2:3], v[13:14]
	s_and_saveexec_b64 s[16:17], vcc
	s_cbranch_execz .LBB1_379
; %bb.377:
	s_mov_b64 s[18:19], 0
.LBB1_378:                              ; =>This Inner Loop Header: Depth=1
	s_sleep 1
	global_store_dwordx2 v[4:5], v[2:3], off
	v_mov_b32_e32 v0, s12
	v_mov_b32_e32 v1, s13
	s_waitcnt vmcnt(0)
	global_atomic_cmpswap_x2 v[0:1], v10, v[0:3], s[10:11] offset:32 glc
	s_waitcnt vmcnt(0)
	v_cmp_eq_u64_e32 vcc, v[0:1], v[2:3]
	v_mov_b32_e32 v3, v1
	s_or_b64 s[18:19], vcc, s[18:19]
	v_mov_b32_e32 v2, v0
	s_andn2_b64 exec, exec, s[18:19]
	s_cbranch_execnz .LBB1_378
.LBB1_379:
	s_or_b64 exec, exec, s[16:17]
	v_mov_b32_e32 v3, 0
	global_load_dwordx2 v[0:1], v3, s[10:11] offset:16
	s_mov_b64 s[16:17], exec
	v_mbcnt_lo_u32_b32 v2, s16, 0
	v_mbcnt_hi_u32_b32 v2, s17, v2
	v_cmp_eq_u32_e32 vcc, 0, v2
	s_and_saveexec_b64 s[18:19], vcc
	s_cbranch_execz .LBB1_381
; %bb.380:
	s_bcnt1_i32_b64 s16, s[16:17]
	v_mov_b32_e32 v2, s16
	s_waitcnt vmcnt(0)
	global_atomic_add_x2 v[0:1], v[2:3], off offset:8
.LBB1_381:
	s_or_b64 exec, exec, s[18:19]
	s_waitcnt vmcnt(0)
	global_load_dwordx2 v[2:3], v[0:1], off offset:16
	s_waitcnt vmcnt(0)
	v_cmp_eq_u64_e32 vcc, 0, v[2:3]
	s_cbranch_vccnz .LBB1_383
; %bb.382:
	global_load_dword v0, v[0:1], off offset:24
	v_mov_b32_e32 v1, 0
	s_waitcnt vmcnt(0)
	v_readfirstlane_b32 s16, v0
	s_and_b32 m0, s16, 0xffffff
	global_store_dwordx2 v[2:3], v[0:1], off
	s_sendmsg sendmsg(MSG_INTERRUPT)
.LBB1_383:
	s_or_b64 exec, exec, s[14:15]
	s_branch .LBB1_387
.LBB1_384:                              ;   in Loop: Header=BB1_387 Depth=1
	s_or_b64 exec, exec, s[14:15]
	v_readfirstlane_b32 s14, v0
	s_cmp_eq_u32 s14, 0
	s_cbranch_scc1 .LBB1_386
; %bb.385:                              ;   in Loop: Header=BB1_387 Depth=1
	s_sleep 1
	s_cbranch_execnz .LBB1_387
	s_branch .LBB1_389
.LBB1_386:
	s_branch .LBB1_389
.LBB1_387:                              ; =>This Inner Loop Header: Depth=1
	v_mov_b32_e32 v0, 1
	s_and_saveexec_b64 s[14:15], s[4:5]
	s_cbranch_execz .LBB1_384
; %bb.388:                              ;   in Loop: Header=BB1_387 Depth=1
	global_load_dword v0, v[8:9], off offset:20 glc
	s_waitcnt vmcnt(0)
	buffer_wbinvl1_vol
	v_and_b32_e32 v0, 1, v0
	s_branch .LBB1_384
.LBB1_389:
	global_load_dwordx2 v[0:1], v[6:7], off
	s_and_saveexec_b64 s[14:15], s[4:5]
	s_cbranch_execz .LBB1_392
; %bb.390:
	v_mov_b32_e32 v8, 0
	global_load_dwordx2 v[2:3], v8, s[10:11] offset:40
	global_load_dwordx2 v[11:12], v8, s[10:11] offset:24 glc
	global_load_dwordx2 v[4:5], v8, s[10:11]
	s_waitcnt vmcnt(2)
	v_readfirstlane_b32 s16, v2
	v_readfirstlane_b32 s17, v3
	s_add_u32 s18, s16, 1
	s_addc_u32 s19, s17, 0
	s_add_u32 s4, s18, s12
	s_addc_u32 s5, s19, s13
	s_cmp_eq_u64 s[4:5], 0
	s_cselect_b32 s5, s19, s5
	s_cselect_b32 s4, s18, s4
	s_and_b64 s[12:13], s[4:5], s[16:17]
	s_mul_i32 s13, s13, 24
	s_mul_hi_u32 s16, s12, 24
	s_mul_i32 s12, s12, 24
	s_add_i32 s13, s16, s13
	v_mov_b32_e32 v2, s13
	s_waitcnt vmcnt(0)
	v_add_co_u32_e32 v6, vcc, s12, v4
	v_addc_co_u32_e32 v7, vcc, v5, v2, vcc
	v_mov_b32_e32 v9, s4
	global_store_dwordx2 v[6:7], v[11:12], off
	v_mov_b32_e32 v10, s5
	s_waitcnt vmcnt(0)
	global_atomic_cmpswap_x2 v[4:5], v8, v[9:12], s[10:11] offset:24 glc
	s_mov_b64 s[12:13], 0
	s_waitcnt vmcnt(0)
	v_cmp_ne_u64_e32 vcc, v[4:5], v[11:12]
	s_and_b64 exec, exec, vcc
	s_cbranch_execz .LBB1_392
.LBB1_391:                              ; =>This Inner Loop Header: Depth=1
	s_sleep 1
	global_store_dwordx2 v[6:7], v[4:5], off
	v_mov_b32_e32 v2, s4
	v_mov_b32_e32 v3, s5
	s_waitcnt vmcnt(0)
	global_atomic_cmpswap_x2 v[2:3], v8, v[2:5], s[10:11] offset:24 glc
	s_waitcnt vmcnt(0)
	v_cmp_eq_u64_e32 vcc, v[2:3], v[4:5]
	v_mov_b32_e32 v5, v3
	s_or_b64 s[12:13], vcc, s[12:13]
	v_mov_b32_e32 v4, v2
	s_andn2_b64 exec, exec, s[12:13]
	s_cbranch_execnz .LBB1_391
.LBB1_392:
	s_or_b64 exec, exec, s[14:15]
.LBB1_393:
	s_or_b64 exec, exec, s[6:7]
	s_getpc_b64 s[4:5]
	s_add_u32 s4, s4, .str.3@rel32@lo+4
	s_addc_u32 s5, s5, .str.3@rel32@hi+12
	s_getpc_b64 s[6:7]
	s_add_u32 s6, s6, .str.3@rel32@lo+32
	s_addc_u32 s7, s7, .str.3@rel32@hi+40
	s_sub_i32 s10, s6, s4
	s_ashr_i32 s11, s10, 31
	s_getpc_b64 s[6:7]
	s_add_u32 s6, s6, __ockl_fprintf_append_string_n@rel32@lo+4
	s_addc_u32 s7, s7, __ockl_fprintf_append_string_n@rel32@hi+12
	v_mov_b32_e32 v2, s4
	v_mov_b32_e32 v3, s5
	;; [unrolled: 1-line block ×5, first 2 shown]
	s_swappc_b64 s[30:31], s[6:7]
	s_trap 2
.Lfunc_end1:
	.size	__assert_fail, .Lfunc_end1-__assert_fail
                                        ; -- End function
	.set .L__assert_fail.num_vgpr, max(41, .L__ockl_fprintf_append_string_n.num_vgpr)
	.set .L__assert_fail.num_agpr, max(0, .L__ockl_fprintf_append_string_n.num_agpr)
	.set .L__assert_fail.numbered_sgpr, max(34, .L__ockl_fprintf_append_string_n.numbered_sgpr)
	.set .L__assert_fail.num_named_barrier, max(0, .L__ockl_fprintf_append_string_n.num_named_barrier)
	.set .L__assert_fail.private_seg_size, 64+max(.L__ockl_fprintf_append_string_n.private_seg_size)
	.set .L__assert_fail.uses_vcc, or(1, .L__ockl_fprintf_append_string_n.uses_vcc)
	.set .L__assert_fail.uses_flat_scratch, or(0, .L__ockl_fprintf_append_string_n.uses_flat_scratch)
	.set .L__assert_fail.has_dyn_sized_stack, or(0, .L__ockl_fprintf_append_string_n.has_dyn_sized_stack)
	.set .L__assert_fail.has_recursion, or(0, .L__ockl_fprintf_append_string_n.has_recursion)
	.set .L__assert_fail.has_indirect_call, or(0, .L__ockl_fprintf_append_string_n.has_indirect_call)
	.section	.AMDGPU.csdata,"",@progbits
; Function info:
; codeLenInByte = 13844
; TotalNumSgprs: 38
; NumVgprs: 41
; ScratchSize: 64
; MemoryBound: 0
	.text
	.p2align	2                               ; -- Begin function _ZN12_GLOBAL__N_17runRingI12hip_bfloat167FuncSumIS1_E11ProtoSimpleILi1ELi1ELi0ELi1ELi0ELi0EELi0ELi1ELi0EEEviiP15ncclDevWorkColl
	.type	_ZN12_GLOBAL__N_17runRingI12hip_bfloat167FuncSumIS1_E11ProtoSimpleILi1ELi1ELi0ELi1ELi0ELi0EELi0ELi1ELi0EEEviiP15ncclDevWorkColl,@function
_ZN12_GLOBAL__N_17runRingI12hip_bfloat167FuncSumIS1_E11ProtoSimpleILi1ELi1ELi0ELi1ELi0ELi0EELi0ELi1ELi0EEEviiP15ncclDevWorkColl: ; @_ZN12_GLOBAL__N_17runRingI12hip_bfloat167FuncSumIS1_E11ProtoSimpleILi1ELi1ELi0ELi1ELi0ELi0EELi0ELi1ELi0EEEviiP15ncclDevWorkColl
; %bb.0:
	s_waitcnt vmcnt(0) expcnt(0) lgkmcnt(0)
	s_mov_b32 s4, s33
	s_mov_b32 s33, s32
	s_or_saveexec_b64 s[6:7], -1
	buffer_store_dword v63, off, s[0:3], s33 offset:88 ; 4-byte Folded Spill
	s_mov_b64 exec, s[6:7]
	v_writelane_b32 v63, s4, 7
	s_addk_i32 s32, 0x1800
	buffer_store_dword v40, off, s[0:3], s33 offset:56 ; 4-byte Folded Spill
	buffer_store_dword v41, off, s[0:3], s33 offset:52 ; 4-byte Folded Spill
	;; [unrolled: 1-line block ×14, first 2 shown]
	buffer_store_dword v62, off, s[0:3], s33 ; 4-byte Folded Spill
	v_writelane_b32 v63, s34, 0
	v_writelane_b32 v63, s35, 1
	;; [unrolled: 1-line block ×7, first 2 shown]
	s_trap 2
	ds_read_b64 v[14:15], v0
	ds_read_b32 v6, v0
	flat_load_ushort v16, v[2:3] offset:8
	flat_load_dwordx2 v[8:9], v[2:3]
                                        ; implicit-def: $vgpr26_vgpr27
                                        ; implicit-def: $vgpr18_vgpr19
	s_waitcnt lgkmcnt(0)
	v_ashrrev_i32_e32 v5, 31, v15
	v_mov_b32_e32 v4, v15
	v_lshlrev_b64 v[4:5], 2, v[4:5]
	v_add_co_u32_e32 v4, vcc, v14, v4
	v_addc_co_u32_e32 v5, vcc, v15, v5, vcc
	v_add_co_u32_e32 v4, vcc, -4, v4
	v_addc_co_u32_e32 v5, vcc, -1, v5, vcc
	flat_load_dword v39, v[4:5]
                                        ; implicit-def: $vgpr4_vgpr5
	s_waitcnt vmcnt(0)
	v_mov_b32_e32 v15, v9
	v_cmp_ne_u32_sdwa s[4:5], v6, v8 src0_sel:DWORD src1_sel:BYTE_0
	s_and_saveexec_b64 s[6:7], s[4:5]
	s_xor_b64 s[4:5], exec, s[6:7]
	s_cbranch_execz .LBB2_6
; %bb.1:
	v_not_b32_sdwa v9, v8 dst_sel:DWORD dst_unused:UNUSED_PAD src0_sel:BYTE_0
	v_cmp_ne_u32_sdwa s[6:7], v6, v8 src0_sel:DWORD src1_sel:BYTE_1
                                        ; implicit-def: $vgpr26_vgpr27
                                        ; implicit-def: $vgpr4_vgpr5
                                        ; implicit-def: $vgpr18_vgpr19
	s_and_saveexec_b64 s[10:11], s[6:7]
	s_xor_b64 s[6:7], exec, s[10:11]
	s_cbranch_execz .LBB2_3
; %bb.2:
	flat_load_dwordx4 v[10:13], v[2:3] offset:72
	flat_load_dwordx2 v[4:5], v[2:3] offset:96
	v_add_u32_e32 v6, v6, v9
	v_ashrrev_i32_e32 v7, 31, v6
                                        ; implicit-def: $vgpr8
                                        ; implicit-def: $vgpr9
	s_waitcnt vmcnt(0) lgkmcnt(0)
	v_mul_lo_u32 v7, v12, v7
	v_mad_u64_u32 v[18:19], s[10:11], v12, v6, v[10:11]
	v_mul_lo_u32 v6, v13, v6
	v_lshrrev_b64 v[26:27], 13, v[4:5]
	v_mov_b32_e32 v4, v12
	v_mov_b32_e32 v5, v13
	v_add3_u32 v19, v6, v19, v7
.LBB2_3:
	s_andn2_saveexec_b64 s[6:7], s[6:7]
	s_cbranch_execz .LBB2_5
; %bb.4:
	flat_load_dwordx4 v[10:13], v[2:3] offset:72
	flat_load_dwordx4 v[4:7], v[2:3] offset:88
	s_waitcnt vmcnt(0) lgkmcnt(0)
	v_add_u32_sdwa v6, v8, v9 dst_sel:DWORD dst_unused:UNUSED_PAD src0_sel:BYTE_1 src1_sel:DWORD
	v_ashrrev_i32_e32 v8, 31, v6
	v_mul_lo_u32 v8, v12, v8
	v_mad_u64_u32 v[18:19], s[10:11], v12, v6, v[10:11]
	v_mul_lo_u32 v6, v13, v6
	v_lshrrev_b32_e32 v26, 2, v7
	v_add3_u32 v19, v6, v19, v8
.LBB2_5:
	s_or_b64 exec, exec, s[6:7]
.LBB2_6:
	s_andn2_saveexec_b64 s[4:5], s[4:5]
	s_cbranch_execz .LBB2_8
; %bb.7:
	flat_load_dwordx2 v[6:7], v[2:3] offset:96
	flat_load_dwordx2 v[4:5], v[2:3] offset:72
	v_mov_b32_e32 v18, 0
	v_mov_b32_e32 v19, 0
	s_waitcnt vmcnt(0) lgkmcnt(0)
	v_lshlrev_b64 v[26:27], 8, v[6:7]
.LBB2_8:
	s_or_b64 exec, exec, s[4:5]
	s_trap 2
	ds_read_b64 v[6:7], v0
	s_waitcnt lgkmcnt(0)
	v_cmp_ne_u32_e32 vcc, -1, v6
	v_cndmask_b32_e64 v38, 0, 1, vcc
	v_cmp_ne_u32_e32 vcc, -1, v7
	v_addc_co_u32_e64 v6, s[4:5], 0, v38, vcc
	v_lshlrev_b32_e32 v7, 1, v6
	v_cmp_le_u32_e64 s[4:5], v7, v1
	s_and_saveexec_b64 s[6:7], s[4:5]
	s_xor_b64 s[22:23], exec, s[6:7]
	s_cbranch_execz .LBB2_769
; %bb.9:
	flat_load_dwordx4 v[10:13], v[2:3] offset:16
	flat_load_dwordx2 v[32:33], v[2:3] offset:104
	s_trap 2
	s_load_dword s4, s[8:9], 0x0
	v_mov_b32_e32 v2, 0
	v_mov_b32_e32 v44, 4
	s_waitcnt lgkmcnt(0)
	s_cmp_lt_u32 s12, s4
	s_cselect_b32 s4, 12, 18
	s_add_u32 s4, s8, s4
	s_addc_u32 s5, s9, 0
	global_load_ushort v30, v2, s[4:5]
	ds_read_b32 v2, v0
	v_cmp_ge_i32_e64 s[4:5], v0, v38
	s_waitcnt lgkmcnt(0)
	v_readfirstlane_b32 s12, v2
	s_and_saveexec_b64 s[6:7], s[4:5]
	s_cbranch_execz .LBB2_19
; %bb.10:
	v_cmp_ge_u32_e64 s[4:5], v0, v6
                                        ; implicit-def: $vgpr44
	s_and_saveexec_b64 s[10:11], s[4:5]
	s_xor_b64 s[4:5], exec, s[10:11]
	s_cbranch_execz .LBB2_16
; %bb.11:
	v_cndmask_b32_e64 v2, 0, 1, vcc
	v_sub_u32_e32 v2, v1, v2
	v_cmp_ge_u32_e32 vcc, v0, v2
	s_and_saveexec_b64 s[10:11], vcc
	s_xor_b64 s[10:11], exec, s[10:11]
; %bb.12:
                                        ; implicit-def: $vgpr6
; %bb.13:
	s_or_saveexec_b64 s[10:11], s[10:11]
	v_mov_b32_e32 v44, 16
	s_xor_b64 exec, exec, s[10:11]
; %bb.14:
	v_sub_u32_e32 v2, v1, v6
	v_cmp_lt_i32_e32 vcc, v0, v2
	v_cndmask_b32_e64 v44, 32, 0, vcc
; %bb.15:
	s_or_b64 exec, exec, s[10:11]
.LBB2_16:
	s_andn2_saveexec_b64 s[4:5], s[4:5]
; %bb.17:
	v_mov_b32_e32 v44, 8
; %bb.18:
	s_or_b64 exec, exec, s[4:5]
.LBB2_19:
	s_or_b64 exec, exec, s[6:7]
	v_and_b32_e32 v2, 36, v44
	v_cmp_ne_u32_e32 vcc, 0, v2
	v_mov_b32_e32 v36, -1
	s_and_saveexec_b64 s[4:5], vcc
	s_cbranch_execz .LBB2_21
; %bb.20:
	s_trap 2
	ds_read_b32 v36, v0
.LBB2_21:
	s_or_b64 exec, exec, s[4:5]
	v_and_b32_e32 v2, 24, v44
	v_cmp_ne_u32_e64 s[4:5], 0, v2
	s_and_saveexec_b64 s[6:7], s[4:5]
	s_cbranch_execz .LBB2_23
; %bb.22:
	s_trap 2
	s_waitcnt lgkmcnt(0)
	ds_read_b32 v36, v0
.LBB2_23:
	s_or_b64 exec, exec, s[6:7]
	v_lshrrev_b64 v[2:3], 31, v[15:16]
	v_mov_b32_e32 v20, 0
	v_mov_b32_e32 v6, 0
	;; [unrolled: 1-line block ×3, first 2 shown]
	v_and_b32_e32 v2, 3, v2
	v_mov_b32_e32 v7, 0
	s_waitcnt lgkmcnt(0)
	v_ashrrev_i32_e32 v37, 31, v36
                                        ; implicit-def: $vgpr8_vgpr9
                                        ; kill: killed $vgpr8_vgpr9
                                        ; implicit-def: $vgpr45
                                        ; implicit-def: $vgpr28_vgpr29
                                        ; implicit-def: $vgpr24_vgpr25
                                        ; implicit-def: $vgpr22_vgpr23
	s_and_saveexec_b64 s[4:5], vcc
	s_cbranch_execz .LBB2_33
; %bb.24:
	s_trap 2
	ds_read_b64 v[6:7], v0
	v_lshlrev_b64 v[8:9], 3, v[36:37]
	v_and_b32_e32 v3, 0xffff, v2
	s_movk_i32 s6, 0xa8
	s_waitcnt lgkmcnt(0)
	v_add_co_u32_e32 v6, vcc, v6, v8
	v_addc_co_u32_e32 v7, vcc, v7, v9, vcc
	flat_load_dwordx2 v[6:7], v[6:7]
	s_waitcnt vmcnt(0) lgkmcnt(0)
	v_mad_u64_u32 v[16:17], s[6:7], v3, s6, v[6:7]
                                        ; implicit-def: $vgpr6_vgpr7
                                        ; kill: killed $vgpr6_vgpr7
	flat_load_dword v3, v[16:17] offset:640
	s_waitcnt vmcnt(0) lgkmcnt(0)
	v_cmp_eq_u32_e32 vcc, 1, v3
	s_and_saveexec_b64 s[6:7], vcc
	s_cbranch_execz .LBB2_26
; %bb.25:
	flat_load_dwordx2 v[8:9], v[16:17] offset:648
	v_or_b32_e32 v44, 0x2000, v44
	s_waitcnt vmcnt(0) lgkmcnt(0)
	flat_load_dwordx2 v[6:7], v[8:9]
	s_trap 2
	s_waitcnt vmcnt(0) lgkmcnt(0)
	ds_write_b64 v0, v[6:7]
	flat_load_dwordx2 v[6:7], v[8:9] offset:8
	s_waitcnt vmcnt(0) lgkmcnt(0)
	ds_write_b64 v0, v[6:7]
	buffer_store_dword v8, off, s[0:3], s33 offset:68 ; 4-byte Folded Spill
	s_nop 0
	buffer_store_dword v9, off, s[0:3], s33 offset:72 ; 4-byte Folded Spill
	flat_load_dwordx2 v[6:7], v[8:9] offset:16
	s_waitcnt vmcnt(0) lgkmcnt(0)
	ds_write_b64 v0, v[6:7]
.LBB2_26:
	s_or_b64 exec, exec, s[6:7]
	flat_load_dwordx2 v[8:9], v[16:17] offset:608
	v_and_b32_e32 v3, 32, v44
	v_cmp_ne_u32_e32 vcc, 0, v3
                                        ; implicit-def: $vgpr22_vgpr23
	s_and_saveexec_b64 s[6:7], vcc
	s_cbranch_execz .LBB2_28
; %bb.27:
	flat_load_dwordx2 v[22:23], v[16:17] offset:560
	s_waitcnt vmcnt(0) lgkmcnt(0)
	flat_store_dwordx2 v[22:23], v[8:9]
.LBB2_28:
	s_or_b64 exec, exec, s[6:7]
	v_add_co_u32_e32 v20, vcc, 0x1f8, v16
	v_addc_co_u32_e32 v21, vcc, 0, v17, vcc
	v_and_b32_e32 v3, 4, v44
	v_mov_b32_e32 v6, 0
	v_mov_b32_e32 v7, 0
	v_cmp_ne_u32_e32 vcc, 0, v3
                                        ; implicit-def: $vgpr45
                                        ; implicit-def: $vgpr28_vgpr29
                                        ; implicit-def: $vgpr24_vgpr25
	s_and_saveexec_b64 s[6:7], vcc
	s_cbranch_execz .LBB2_32
; %bb.29:
	v_and_b32_e32 v3, 0x800, v44
	v_cmp_eq_u32_e32 vcc, 0, v3
	s_and_saveexec_b64 s[10:11], vcc
	s_cbranch_execz .LBB2_31
; %bb.30:
	s_trap 2
	ds_write_b64 v0, v[20:21]
.LBB2_31:
	s_or_b64 exec, exec, s[10:11]
	flat_load_dwordx2 v[22:23], v[16:17] offset:552
	s_waitcnt vmcnt(0) lgkmcnt(0)
	flat_load_dwordx2 v[28:29], v[22:23] glc
	flat_load_dword v3, v[16:17] offset:576
	flat_load_dwordx2 v[6:7], v[16:17] offset:600
	flat_load_dwordx2 v[24:25], v[16:17] offset:520
	v_or_b32_e32 v16, 0x100, v44
	s_waitcnt vmcnt(0) lgkmcnt(0)
	v_ashrrev_i32_e32 v45, 1, v3
	v_cmp_eq_u64_e32 vcc, 0, v[6:7]
	v_cndmask_b32_e32 v44, v16, v44, vcc
.LBB2_32:
	s_or_b64 exec, exec, s[6:7]
.LBB2_33:
	s_or_b64 exec, exec, s[4:5]
	v_and_b32_e32 v3, 24, v44
	v_cmp_ne_u32_e32 vcc, 0, v3
                                        ; implicit-def: $vgpr34_vgpr35
	s_and_saveexec_b64 s[4:5], vcc
	s_cbranch_execz .LBB2_41
; %bb.34:
	s_trap 2
	ds_read_b64 v[6:7], v0
	s_waitcnt vmcnt(0) lgkmcnt(0)
	v_lshlrev_b64 v[8:9], 3, v[36:37]
	v_and_b32_e32 v2, 0xffff, v2
	s_movk_i32 s6, 0xa8
                                        ; implicit-def: $vgpr34_vgpr35
	v_add_co_u32_e32 v6, vcc, v6, v8
	v_addc_co_u32_e32 v7, vcc, v7, v9, vcc
	flat_load_dwordx2 v[6:7], v[6:7]
	s_waitcnt vmcnt(0) lgkmcnt(0)
	v_mad_u64_u32 v[20:21], s[6:7], v2, s6, v[6:7]
	v_or_b32_e32 v2, 0x100, v44
	flat_load_dwordx4 v[6:9], v[20:21] offset:96
	s_waitcnt vmcnt(0) lgkmcnt(0)
	v_cmp_eq_u64_e32 vcc, 0, v[6:7]
	v_cndmask_b32_e32 v44, v2, v44, vcc
	v_and_b32_e32 v2, 16, v44
	v_cmp_ne_u32_e32 vcc, 0, v2
	s_and_saveexec_b64 s[6:7], vcc
	s_cbranch_execz .LBB2_36
; %bb.35:
	flat_load_dwordx2 v[22:23], v[20:21] offset:48
	flat_load_dwordx2 v[34:35], v[20:21] offset:120
	;; [unrolled: 1-line block ×3, first 2 shown]
.LBB2_36:
	s_or_b64 exec, exec, s[6:7]
	v_and_b32_e32 v2, 8, v44
	v_cmp_ne_u32_e32 vcc, 0, v2
	s_and_saveexec_b64 s[6:7], vcc
	s_cbranch_execz .LBB2_40
; %bb.37:
	v_and_b32_e32 v2, 0x800, v44
	v_cmp_eq_u32_e32 vcc, 0, v2
	s_and_saveexec_b64 s[10:11], vcc
	s_cbranch_execz .LBB2_39
; %bb.38:
	s_trap 2
	ds_write_b64 v0, v[20:21]
.LBB2_39:
	s_or_b64 exec, exec, s[10:11]
	s_waitcnt vmcnt(0) lgkmcnt(0)
	flat_load_dwordx2 v[22:23], v[20:21] offset:56
	s_waitcnt vmcnt(0) lgkmcnt(0)
	flat_load_dwordx2 v[28:29], v[22:23] glc
	flat_load_dword v2, v[20:21] offset:72
	flat_load_dwordx2 v[24:25], v[20:21] offset:16
	s_waitcnt vmcnt(0) lgkmcnt(0)
	v_ashrrev_i32_e32 v45, 1, v2
.LBB2_40:
	s_or_b64 exec, exec, s[6:7]
.LBB2_41:
	s_or_b64 exec, exec, s[4:5]
	v_cmp_eq_u32_e64 s[4:5], 0, v0
	s_and_saveexec_b64 s[6:7], s[4:5]
	s_cbranch_execz .LBB2_43
; %bb.42:
	s_waitcnt vmcnt(0)
	v_mov_b32_e32 v2, v12
	v_mov_b32_e32 v3, v13
	ds_write2_b64 v0, v[2:3], v[10:11] offset1:1
	v_mov_b32_e32 v2, 0
	v_mov_b32_e32 v3, v2
	s_trap 2
	ds_write_b64 v0, v[2:3]
	ds_write_b64 v0, v[32:33]
.LBB2_43:
	s_or_b64 exec, exec, s[6:7]
	s_ashr_i32 s6, s12, 31
	s_lshr_b32 s6, s6, 29
	s_add_i32 s12, s12, s6
	v_bfe_u32 v2, v15, 1, 30
	s_waitcnt vmcnt(0)
	v_and_b32_e32 v32, 0x1fffff00, v26
	v_mov_b32_e32 v33, 0
	s_ashr_i32 s30, s12, 4
	v_cmp_ne_u32_e32 vcc, v39, v2
                                        ; implicit-def: $vgpr26_vgpr27
	s_and_saveexec_b64 s[6:7], vcc
	s_xor_b64 s[24:25], exec, s[6:7]
	s_cbranch_execz .LBB2_561
; %bb.44:
	v_cmp_ne_u32_e32 vcc, v14, v2
                                        ; implicit-def: $vgpr26_vgpr27
	s_and_saveexec_b64 s[6:7], vcc
	s_xor_b64 s[26:27], exec, s[6:7]
	s_cbranch_execz .LBB2_308
; %bb.45:
	v_mov_b32_e32 v26, 0
	v_cmp_ne_u64_e32 vcc, 0, v[4:5]
	v_mov_b32_e32 v27, 0
	s_and_saveexec_b64 s[28:29], vcc
	s_cbranch_execz .LBB2_307
; %bb.46:
	v_and_b32_e32 v2, 63, v31
	v_cmp_eq_u32_e64 s[12:13], 0, v2
	v_ashrrev_i32_e32 v2, 31, v0
	v_lshrrev_b32_e32 v2, 26, v2
	v_add_u32_e32 v2, v0, v2
	v_and_b32_e32 v3, 0xffffffc0, v2
	v_ashrrev_i32_e32 v2, 6, v2
	v_sub_u32_e32 v58, 0, v2
	v_lshlrev_b32_e32 v2, 4, v0
	s_lshr_b32 s6, s30, 27
	v_sub_u32_e32 v3, v0, v3
	v_ashrrev_i32_e32 v2, 31, v2
	s_trap 2
	s_add_i32 s6, s30, s6
	v_cmp_eq_u32_e32 vcc, 64, v1
	v_lshrrev_b32_e32 v46, 6, v1
	v_cmp_le_i32_e64 s[14:15], v3, v38
	v_cmp_lt_i32_e64 s[16:17], v3, v38
	buffer_store_dword v2, off, s[0:3], s33 offset:84 ; 4-byte Folded Spill
	v_lshlrev_b32_e32 v2, 1, v1
	s_waitcnt lgkmcnt(0)
	v_cmp_eq_u64_e64 s[18:19], 0, v[34:35]
	v_mov_b32_e32 v38, 0
	v_mov_b32_e32 v26, 0
	s_ashr_i32 s31, s6, 5
	v_cmp_ge_i32_e64 s[6:7], v0, v1
	v_ashrrev_i32_e32 v62, 31, v45
	v_cmp_ne_u32_e64 s[10:11], 64, v1
	v_cmp_ne_u32_sdwa s[40:41], v1, v30 src0_sel:DWORD src1_sel:WORD_0
	v_mov_b32_e32 v36, 0
	v_lshlrev_b32_e32 v59, 10, v46
	v_lshlrev_b32_e32 v60, 9, v46
	v_and_b32_e32 v61, 0x7f80, v2
	s_mov_b64 s[42:43], 0
	v_mov_b32_e32 v39, 0
	v_mov_b32_e32 v27, 0
	s_movk_i32 s34, 0x108
	v_mov_b32_e32 v53, 1
	s_xor_b64 s[44:45], vcc, -1
	s_mov_b32 s35, 0x7f800000
	s_movk_i32 s36, 0x7fff
	s_mov_b32 s37, 0xffff0000
	v_mov_b32_e32 v16, 0xc8
	v_mov_b32_e32 v17, 0x90
	buffer_store_dword v30, off, s[0:3], s33 offset:64 ; 4-byte Folded Spill
	buffer_store_dword v31, off, s[0:3], s33 offset:60 ; 4-byte Folded Spill
	;; [unrolled: 1-line block ×4, first 2 shown]
	s_branch .LBB2_49
.LBB2_47:                               ;   in Loop: Header=BB2_49 Depth=1
	s_or_b64 exec, exec, s[20:21]
.LBB2_48:                               ;   in Loop: Header=BB2_49 Depth=1
	s_or_b64 exec, exec, s[56:57]
	v_add_co_u32_e32 v38, vcc, v38, v32
	v_addc_co_u32_e32 v39, vcc, 0, v39, vcc
	v_cmp_ge_u64_e32 vcc, v[38:39], v[4:5]
	s_or_b64 s[42:43], vcc, s[42:43]
	s_andn2_b64 exec, exec, s[42:43]
	s_cbranch_execz .LBB2_306
.LBB2_49:                               ; =>This Loop Header: Depth=1
                                        ;     Child Loop BB2_58 Depth 2
                                        ;     Child Loop BB2_86 Depth 2
                                        ;     Child Loop BB2_105 Depth 2
                                        ;     Child Loop BB2_128 Depth 2
                                        ;     Child Loop BB2_165 Depth 2
                                        ;     Child Loop BB2_203 Depth 2
                                        ;     Child Loop BB2_224 Depth 2
                                        ;     Child Loop BB2_236 Depth 2
                                        ;     Child Loop BB2_261 Depth 2
                                        ;     Child Loop BB2_289 Depth 2
	v_sub_co_u32_e32 v2, vcc, v4, v38
	v_subb_co_u32_e32 v3, vcc, v5, v39, vcc
	v_cmp_lt_u64_e32 vcc, v[32:33], v[2:3]
	v_cndmask_b32_e64 v49, v3, 0, vcc
	v_cndmask_b32_e32 v48, v2, v32, vcc
	v_cmp_eq_u64_e32 vcc, 0, v[48:49]
	v_add_u32_e32 v2, 15, v48
	v_and_b32_e32 v2, 0x3ffffff0, v2
	s_or_b64 s[46:47], s[6:7], vcc
	v_max_i32_e32 v2, s31, v2
	s_xor_b64 s[20:21], s[46:47], -1
	v_mov_b32_e32 v3, 0
	s_and_saveexec_b64 s[56:57], s[20:21]
	s_cbranch_execz .LBB2_254
; %bb.50:                               ;   in Loop: Header=BB2_49 Depth=1
	s_and_saveexec_b64 s[20:21], s[4:5]
	s_cbranch_execz .LBB2_52
; %bb.51:                               ;   in Loop: Header=BB2_49 Depth=1
	s_trap 2
	ds_read_b64 v[10:11], v0
	v_lshlrev_b64 v[12:13], 1, v[18:19]
	v_mov_b32_e32 v37, v36
	ds_write_b64 v0, v[36:37]
	s_waitcnt lgkmcnt(0)
	v_add_co_u32_e32 v3, vcc, v10, v12
	v_addc_co_u32_e32 v12, vcc, v11, v13, vcc
	v_lshlrev_b64 v[10:11], 1, v[38:39]
	v_add_co_u32_e32 v10, vcc, v3, v10
	v_addc_co_u32_e32 v11, vcc, v12, v11, vcc
	ds_write_b64 v0, v[10:11]
.LBB2_52:                               ;   in Loop: Header=BB2_49 Depth=1
	s_or_b64 exec, exec, s[20:21]
	v_and_b32_e32 v3, 12, v44
	v_min_u32_e32 v2, v2, v48
	v_cmp_ne_u32_e32 vcc, 0, v3
	s_and_saveexec_b64 s[58:59], vcc
	s_cbranch_execz .LBB2_78
; %bb.53:                               ;   in Loop: Header=BB2_49 Depth=1
	v_and_b32_e32 v3, 8, v44
	s_waitcnt vmcnt(0)
	v_add_co_u32_e32 v12, vcc, v28, v3
	v_addc_co_u32_e32 v13, vcc, 0, v29, vcc
	v_add_co_u32_e32 v10, vcc, 1, v8
	v_addc_co_u32_e32 v11, vcc, 0, v9, vcc
	v_cmp_lt_u64_e32 vcc, v[12:13], v[10:11]
	s_and_saveexec_b64 s[60:61], vcc
	s_cbranch_execz .LBB2_65
; %bb.54:                               ;   in Loop: Header=BB2_49 Depth=1
	v_and_b32_e32 v9, 64, v44
	s_mov_b32 s38, 0
	v_cmp_eq_u32_e32 vcc, 0, v9
	s_mov_b64 s[62:63], 0
                                        ; implicit-def: $sgpr72_sgpr73
                                        ; implicit-def: $sgpr74_sgpr75
                                        ; implicit-def: $sgpr76_sgpr77
	s_branch .LBB2_58
.LBB2_55:                               ;   in Loop: Header=BB2_58 Depth=2
	s_waitcnt vmcnt(0) lgkmcnt(0)
	v_add_co_u32_e64 v12, s[20:21], v28, v3
	v_addc_co_u32_e64 v13, s[20:21], 0, v29, s[20:21]
	v_cmp_ge_u64_e64 s[20:21], v[12:13], v[10:11]
	s_or_b64 s[90:91], s[90:91], exec
	s_orn2_b64 s[88:89], s[20:21], exec
.LBB2_56:                               ;   in Loop: Header=BB2_58 Depth=2
	s_or_b64 exec, exec, s[94:95]
	s_andn2_b64 s[20:21], s[76:77], exec
	s_and_b64 s[76:77], s[90:91], exec
	s_or_b64 s[76:77], s[20:21], s[76:77]
	s_andn2_b64 s[20:21], s[74:75], exec
	s_and_b64 s[74:75], s[88:89], exec
	s_or_b64 s[74:75], s[20:21], s[74:75]
.LBB2_57:                               ;   in Loop: Header=BB2_58 Depth=2
	s_or_b64 exec, exec, s[78:79]
	s_and_b64 s[20:21], exec, s[74:75]
	s_or_b64 s[62:63], s[20:21], s[62:63]
	s_andn2_b64 s[20:21], s[72:73], exec
	s_and_b64 s[72:73], s[76:77], exec
	s_or_b64 s[72:73], s[20:21], s[72:73]
	s_andn2_b64 exec, exec, s[62:63]
	s_cbranch_execz .LBB2_62
.LBB2_58:                               ;   Parent Loop BB2_49 Depth=1
                                        ; =>  This Inner Loop Header: Depth=2
	s_sleep 1
	s_waitcnt vmcnt(0) lgkmcnt(0)
	flat_load_dwordx2 v[28:29], v[22:23] glc
	s_or_b64 s[76:77], s[76:77], exec
	s_or_b64 s[74:75], s[74:75], exec
                                        ; implicit-def: $vgpr9
	s_and_saveexec_b64 s[78:79], vcc
	s_cbranch_execz .LBB2_57
; %bb.59:                               ;   in Loop: Header=BB2_58 Depth=2
	s_cmpk_lt_i32 s38, 0x270f
	s_cselect_b64 s[92:93], -1, 0
	s_cmpk_gt_i32 s38, 0x270e
	s_mov_b64 s[88:89], -1
	s_cbranch_scc0 .LBB2_61
; %bb.60:                               ;   in Loop: Header=BB2_58 Depth=2
	s_trap 2
	ds_read_b64 v[12:13], v0
	s_andn2_b64 s[92:93], s[92:93], exec
	s_mov_b32 s38, 0
	s_mov_b64 s[90:91], 0
	s_waitcnt vmcnt(0) lgkmcnt(0)
	flat_load_dword v9, v[12:13] glc
	s_waitcnt vmcnt(0) lgkmcnt(0)
	buffer_wbinvl1_vol
	v_cmp_eq_u32_e64 s[20:21], 0, v9
	s_and_b64 s[20:21], s[20:21], exec
	s_or_b64 s[92:93], s[92:93], s[20:21]
	s_and_saveexec_b64 s[94:95], s[92:93]
	s_cbranch_execz .LBB2_56
	s_branch .LBB2_55
.LBB2_61:                               ;   in Loop: Header=BB2_58 Depth=2
	s_add_i32 s38, s38, 1
	s_mov_b64 s[90:91], -1
                                        ; implicit-def: $vgpr9
	s_and_saveexec_b64 s[94:95], s[92:93]
	s_cbranch_execz .LBB2_56
	s_branch .LBB2_55
.LBB2_62:                               ;   in Loop: Header=BB2_49 Depth=1
	s_or_b64 exec, exec, s[62:63]
	s_xor_b64 s[20:21], s[72:73], -1
	s_and_saveexec_b64 s[62:63], s[20:21]
	s_xor_b64 s[20:21], exec, s[62:63]
	s_cbranch_execz .LBB2_64
; %bb.63:                               ;   in Loop: Header=BB2_49 Depth=1
	v_or_b32_e32 v44, 64, v44
	s_waitcnt lgkmcnt(0)
	ds_write_b32 v0, v9
	s_trap 2
.LBB2_64:                               ;   in Loop: Header=BB2_49 Depth=1
	s_or_b64 exec, exec, s[20:21]
.LBB2_65:                               ;   in Loop: Header=BB2_49 Depth=1
	s_or_b64 exec, exec, s[60:61]
	v_and_b32_e32 v9, 0x108, v44
	v_cmp_ne_u32_e32 vcc, s34, v9
	v_and_b32_e32 v14, 7, v8
	;;#ASMSTART
	s_wakeup
	;;#ASMEND
	s_and_saveexec_b64 s[20:21], vcc
	s_xor_b64 s[20:21], exec, s[20:21]
                                        ; implicit-def: $vgpr15
; %bb.66:                               ;   in Loop: Header=BB2_49 Depth=1
	v_mov_b32_e32 v15, v36
; %bb.67:                               ;   in Loop: Header=BB2_49 Depth=1
	s_andn2_saveexec_b64 s[20:21], s[20:21]
	s_cbranch_execz .LBB2_69
; %bb.68:                               ;   in Loop: Header=BB2_49 Depth=1
	v_mad_u64_u32 v[8:9], s[60:61], v14, 24, v[6:7]
	v_mov_b32_e32 v15, v36
	v_lshlrev_b32_e32 v12, 1, v2
	v_mov_b32_e32 v13, v36
	flat_store_dwordx2 v[8:9], v[12:13] offset:8
.LBB2_69:                               ;   in Loop: Header=BB2_49 Depth=1
	s_or_b64 exec, exec, s[20:21]
	v_and_b32_e32 v8, 0x100, v44
	v_cmp_ne_u32_e32 vcc, 0, v8
	s_mov_b64 s[20:21], -1
                                        ; implicit-def: $vgpr8_vgpr9
	s_and_saveexec_b64 s[60:61], vcc
	s_cbranch_execz .LBB2_73
; %bb.70:                               ;   in Loop: Header=BB2_49 Depth=1
	v_mad_u64_u32 v[12:13], s[20:21], v14, 24, v[6:7]
	v_mov_b32_e32 v8, v13
	v_mad_u64_u32 v[8:9], s[20:21], v15, 24, v[8:9]
	v_mov_b32_e32 v13, v8
	flat_load_dword v8, v[12:13]
	s_waitcnt vmcnt(0) lgkmcnt(0)
	v_cmp_ne_u32_e32 vcc, 1, v8
	v_cmp_eq_u32_e64 s[20:21], 1, v8
                                        ; implicit-def: $vgpr8_vgpr9
	s_and_saveexec_b64 s[62:63], s[20:21]
	s_cbranch_execz .LBB2_72
; %bb.71:                               ;   in Loop: Header=BB2_49 Depth=1
	flat_load_dword v8, v[12:13] offset:4 glc
	s_waitcnt vmcnt(0) lgkmcnt(0)
	v_ashrrev_i32_e32 v9, 31, v8
	v_lshrrev_b64 v[8:9], 1, v[8:9]
.LBB2_72:                               ;   in Loop: Header=BB2_49 Depth=1
	s_or_b64 exec, exec, s[62:63]
	s_orn2_b64 s[20:21], vcc, exec
.LBB2_73:                               ;   in Loop: Header=BB2_49 Depth=1
	s_or_b64 exec, exec, s[60:61]
	s_and_saveexec_b64 s[60:61], s[20:21]
	s_cbranch_execz .LBB2_75
; %bb.74:                               ;   in Loop: Header=BB2_49 Depth=1
	v_mul_lo_u32 v12, v15, v45
	v_mul_lo_u32 v13, v14, v62
	v_mad_u64_u32 v[8:9], s[20:21], v14, v45, 0
	v_add3_u32 v9, v9, v13, v12
.LBB2_75:                               ;   in Loop: Header=BB2_49 Depth=1
	s_or_b64 exec, exec, s[60:61]
	v_lshlrev_b64 v[8:9], 1, v[8:9]
	v_cmp_eq_u32_e32 vcc, 0, v3
	v_cndmask_b32_e32 v3, v16, v17, vcc
	v_add_co_u32_e32 v8, vcc, v24, v8
	v_addc_co_u32_e32 v9, vcc, v25, v9, vcc
	v_add_u32_e32 v3, v0, v3
	ds_write_b64 v3, v[8:9] offset:584
	v_and_b32_e32 v3, 0x2000, v44
	v_cmp_ne_u32_e32 vcc, 0, v3
	s_and_saveexec_b64 s[20:21], vcc
	s_cbranch_execz .LBB2_77
; %bb.76:                               ;   in Loop: Header=BB2_49 Depth=1
	ds_read_b64 v[8:9], v0 offset:872
	s_waitcnt lgkmcnt(0)
	v_add_co_u32_e32 v8, vcc, 1, v8
	v_addc_co_u32_e32 v9, vcc, 0, v9, vcc
	ds_write_b64 v0, v[8:9] offset:872
.LBB2_77:                               ;   in Loop: Header=BB2_49 Depth=1
	s_or_b64 exec, exec, s[20:21]
	v_mov_b32_e32 v8, v10
	v_mov_b32_e32 v9, v11
.LBB2_78:                               ;   in Loop: Header=BB2_49 Depth=1
	s_or_b64 exec, exec, s[58:59]
	s_and_saveexec_b64 s[20:21], s[10:11]
	s_cbranch_execz .LBB2_97
; %bb.79:                               ;   in Loop: Header=BB2_49 Depth=1
	s_and_saveexec_b64 s[58:59], s[40:41]
	s_xor_b64 s[58:59], exec, s[58:59]
	s_cbranch_execz .LBB2_94
; %bb.80:                               ;   in Loop: Header=BB2_49 Depth=1
	s_and_saveexec_b64 s[60:61], s[12:13]
	s_cbranch_execz .LBB2_93
; %bb.81:                               ;   in Loop: Header=BB2_49 Depth=1
	s_mov_b64 s[72:73], exec
	v_mbcnt_lo_u32_b32 v3, s72, 0
	v_mbcnt_hi_u32_b32 v3, s73, v3
	v_cmp_eq_u32_e32 vcc, 0, v3
	s_waitcnt vmcnt(0) lgkmcnt(0)
	buffer_wbinvl1_vol
	s_and_saveexec_b64 s[62:63], vcc
	s_cbranch_execz .LBB2_83
; %bb.82:                               ;   in Loop: Header=BB2_49 Depth=1
	s_bcnt1_i32_b64 s72, s[72:73]
	v_mov_b32_e32 v10, s72
	v_mov_b32_e32 v11, v36
	ds_add_u64 v0, v[10:11]
	s_trap 2
.LBB2_83:                               ;   in Loop: Header=BB2_49 Depth=1
	s_or_b64 exec, exec, s[62:63]
	s_trap 2
	ds_read_b64 v[10:11], v0
	s_waitcnt lgkmcnt(0)
	v_add_co_u32_e32 v26, vcc, v26, v46
	v_addc_co_u32_e32 v27, vcc, 0, v27, vcc
	v_cmp_lt_u64_e32 vcc, v[10:11], v[26:27]
	s_and_saveexec_b64 s[62:63], vcc
	s_cbranch_execz .LBB2_92
; %bb.84:                               ;   in Loop: Header=BB2_49 Depth=1
	s_mov_b32 s92, 0
	s_mov_b64 s[72:73], 0
                                        ; implicit-def: $sgpr74_sgpr75
                                        ; implicit-def: $sgpr76_sgpr77
	s_branch .LBB2_86
.LBB2_85:                               ;   in Loop: Header=BB2_86 Depth=2
	s_or_b64 exec, exec, s[88:89]
	s_and_b64 s[78:79], exec, s[90:91]
	s_or_b64 s[72:73], s[78:79], s[72:73]
	s_andn2_b64 s[74:75], s[74:75], exec
	s_and_b64 s[78:79], s[76:77], exec
	s_or_b64 s[74:75], s[74:75], s[78:79]
	s_andn2_b64 exec, exec, s[72:73]
	s_cbranch_execz .LBB2_90
.LBB2_86:                               ;   Parent Loop BB2_49 Depth=1
                                        ; =>  This Inner Loop Header: Depth=2
	s_add_i32 s92, s92, 1
	s_cmpk_lg_i32 s92, 0x2710
	s_cselect_b64 s[78:79], -1, 0
	s_and_b64 vcc, exec, s[78:79]
	s_cbranch_vccz .LBB2_88
; %bb.87:                               ;   in Loop: Header=BB2_86 Depth=2
	s_mov_b64 s[90:91], -1
	s_or_b64 s[76:77], s[76:77], exec
	s_and_saveexec_b64 s[88:89], s[78:79]
	s_cbranch_execz .LBB2_85
	s_branch .LBB2_89
.LBB2_88:                               ;   in Loop: Header=BB2_86 Depth=2
	s_trap 2
	ds_read_b64 v[10:11], v0
	s_andn2_b64 s[78:79], s[78:79], exec
	s_mov_b32 s92, 0
	s_waitcnt lgkmcnt(0)
	flat_load_dword v3, v[10:11] glc
	s_waitcnt vmcnt(0) lgkmcnt(0)
	buffer_wbinvl1_vol
	v_cmp_eq_u32_e32 vcc, 0, v3
	s_and_b64 s[88:89], vcc, exec
	s_or_b64 s[78:79], s[78:79], s[88:89]
	s_mov_b64 s[90:91], -1
	s_or_b64 s[76:77], s[76:77], exec
	s_and_saveexec_b64 s[88:89], s[78:79]
	s_cbranch_execz .LBB2_85
.LBB2_89:                               ;   in Loop: Header=BB2_86 Depth=2
	s_sleep 1
	s_trap 2
	ds_read_b64 v[10:11], v0
	s_waitcnt lgkmcnt(0)
	s_andn2_b64 s[76:77], s[76:77], exec
	v_cmp_ge_u64_e32 vcc, v[10:11], v[26:27]
	s_orn2_b64 s[90:91], vcc, exec
	s_branch .LBB2_85
.LBB2_90:                               ;   in Loop: Header=BB2_49 Depth=1
	s_or_b64 exec, exec, s[72:73]
	s_and_saveexec_b64 s[72:73], s[74:75]
	s_xor_b64 s[72:73], exec, s[72:73]
	s_cbranch_execz .LBB2_92
; %bb.91:                               ;   in Loop: Header=BB2_49 Depth=1
	ds_write_b32 v0, v53
	s_trap 2
.LBB2_92:                               ;   in Loop: Header=BB2_49 Depth=1
	s_or_b64 exec, exec, s[62:63]
	;;#ASMSTART
	s_wakeup
	;;#ASMEND
.LBB2_93:                               ;   in Loop: Header=BB2_49 Depth=1
	s_or_b64 exec, exec, s[60:61]
.LBB2_94:                               ;   in Loop: Header=BB2_49 Depth=1
	s_andn2_saveexec_b64 s[58:59], s[58:59]
	s_cbranch_execz .LBB2_96
; %bb.95:                               ;   in Loop: Header=BB2_49 Depth=1
	s_waitcnt vmcnt(0) lgkmcnt(0)
	buffer_wbinvl1_vol
	s_barrier
.LBB2_96:                               ;   in Loop: Header=BB2_49 Depth=1
	s_or_b64 exec, exec, s[58:59]
.LBB2_97:                               ;   in Loop: Header=BB2_49 Depth=1
	s_or_b64 exec, exec, s[20:21]
	s_trap 2
	ds_read_b32 v3, v0
	v_and_b32_e32 v10, 0x4000, v44
	v_cmp_ne_u32_e32 vcc, 0, v10
	s_and_b64 s[58:59], s[44:45], vcc
	s_and_saveexec_b64 s[20:21], s[58:59]
	s_cbranch_execz .LBB2_116
; %bb.98:                               ;   in Loop: Header=BB2_49 Depth=1
	s_and_saveexec_b64 s[58:59], s[40:41]
	s_xor_b64 s[58:59], exec, s[58:59]
	s_cbranch_execz .LBB2_113
; %bb.99:                               ;   in Loop: Header=BB2_49 Depth=1
	s_and_saveexec_b64 s[60:61], s[12:13]
	s_cbranch_execz .LBB2_112
; %bb.100:                              ;   in Loop: Header=BB2_49 Depth=1
	s_mov_b64 s[72:73], exec
	v_mbcnt_lo_u32_b32 v10, s72, 0
	v_mbcnt_hi_u32_b32 v10, s73, v10
	v_cmp_eq_u32_e32 vcc, 0, v10
	s_waitcnt vmcnt(0) lgkmcnt(0)
	buffer_wbinvl1_vol
	s_and_saveexec_b64 s[62:63], vcc
	s_cbranch_execz .LBB2_102
; %bb.101:                              ;   in Loop: Header=BB2_49 Depth=1
	s_bcnt1_i32_b64 s72, s[72:73]
	v_mov_b32_e32 v10, s72
	v_mov_b32_e32 v11, v36
	ds_add_u64 v0, v[10:11]
	s_trap 2
.LBB2_102:                              ;   in Loop: Header=BB2_49 Depth=1
	s_or_b64 exec, exec, s[62:63]
	s_trap 2
	ds_read_b64 v[10:11], v0
	s_waitcnt lgkmcnt(0)
	v_add_co_u32_e32 v26, vcc, v26, v46
	v_addc_co_u32_e32 v27, vcc, 0, v27, vcc
	v_cmp_lt_u64_e32 vcc, v[10:11], v[26:27]
	s_and_saveexec_b64 s[62:63], vcc
	s_cbranch_execz .LBB2_111
; %bb.103:                              ;   in Loop: Header=BB2_49 Depth=1
	s_mov_b32 s92, 0
	s_mov_b64 s[72:73], 0
                                        ; implicit-def: $sgpr74_sgpr75
                                        ; implicit-def: $sgpr76_sgpr77
	s_branch .LBB2_105
.LBB2_104:                              ;   in Loop: Header=BB2_105 Depth=2
	s_or_b64 exec, exec, s[88:89]
	s_and_b64 s[78:79], exec, s[90:91]
	s_or_b64 s[72:73], s[78:79], s[72:73]
	s_andn2_b64 s[74:75], s[74:75], exec
	s_and_b64 s[78:79], s[76:77], exec
	s_or_b64 s[74:75], s[74:75], s[78:79]
	s_andn2_b64 exec, exec, s[72:73]
	s_cbranch_execz .LBB2_109
.LBB2_105:                              ;   Parent Loop BB2_49 Depth=1
                                        ; =>  This Inner Loop Header: Depth=2
	s_add_i32 s92, s92, 1
	s_cmpk_lg_i32 s92, 0x2710
	s_cselect_b64 s[78:79], -1, 0
	s_and_b64 vcc, exec, s[78:79]
	s_cbranch_vccz .LBB2_107
; %bb.106:                              ;   in Loop: Header=BB2_105 Depth=2
	s_mov_b64 s[90:91], -1
	s_or_b64 s[76:77], s[76:77], exec
	s_and_saveexec_b64 s[88:89], s[78:79]
	s_cbranch_execz .LBB2_104
	s_branch .LBB2_108
.LBB2_107:                              ;   in Loop: Header=BB2_105 Depth=2
	s_trap 2
	ds_read_b64 v[10:11], v0
	s_andn2_b64 s[78:79], s[78:79], exec
	s_mov_b32 s92, 0
	s_waitcnt lgkmcnt(0)
	flat_load_dword v10, v[10:11] glc
	s_waitcnt vmcnt(0) lgkmcnt(0)
	buffer_wbinvl1_vol
	v_cmp_eq_u32_e32 vcc, 0, v10
	s_and_b64 s[88:89], vcc, exec
	s_or_b64 s[78:79], s[78:79], s[88:89]
	s_mov_b64 s[90:91], -1
	s_or_b64 s[76:77], s[76:77], exec
	s_and_saveexec_b64 s[88:89], s[78:79]
	s_cbranch_execz .LBB2_104
.LBB2_108:                              ;   in Loop: Header=BB2_105 Depth=2
	s_sleep 1
	s_trap 2
	ds_read_b64 v[10:11], v0
	s_waitcnt lgkmcnt(0)
	s_andn2_b64 s[76:77], s[76:77], exec
	v_cmp_ge_u64_e32 vcc, v[10:11], v[26:27]
	s_orn2_b64 s[90:91], vcc, exec
	s_branch .LBB2_104
.LBB2_109:                              ;   in Loop: Header=BB2_49 Depth=1
	s_or_b64 exec, exec, s[72:73]
	s_and_saveexec_b64 s[72:73], s[74:75]
	s_xor_b64 s[72:73], exec, s[72:73]
	s_cbranch_execz .LBB2_111
; %bb.110:                              ;   in Loop: Header=BB2_49 Depth=1
	ds_write_b32 v0, v53
	s_trap 2
.LBB2_111:                              ;   in Loop: Header=BB2_49 Depth=1
	s_or_b64 exec, exec, s[62:63]
	;;#ASMSTART
	s_wakeup
	;;#ASMEND
.LBB2_112:                              ;   in Loop: Header=BB2_49 Depth=1
	s_or_b64 exec, exec, s[60:61]
.LBB2_113:                              ;   in Loop: Header=BB2_49 Depth=1
	s_andn2_saveexec_b64 s[58:59], s[58:59]
	s_cbranch_execz .LBB2_115
; %bb.114:                              ;   in Loop: Header=BB2_49 Depth=1
	s_waitcnt vmcnt(0) lgkmcnt(0)
	buffer_wbinvl1_vol
	s_barrier
.LBB2_115:                              ;   in Loop: Header=BB2_49 Depth=1
	s_or_b64 exec, exec, s[58:59]
.LBB2_116:                              ;   in Loop: Header=BB2_49 Depth=1
	s_or_b64 exec, exec, s[20:21]
	s_trap 2
	ds_read_b64 v[49:50], v0
	s_waitcnt lgkmcnt(0)
	v_cmp_eq_u64_e32 vcc, 0, v[49:50]
	s_cbranch_vccnz .LBB2_124
; %bb.117:                              ;   in Loop: Header=BB2_49 Depth=1
	s_trap 2
	ds_read_b64 v[51:52], v0
	s_waitcnt lgkmcnt(0)
	v_cmp_eq_u64_e32 vcc, 0, v[51:52]
	s_cbranch_vccnz .LBB2_124
; %bb.118:                              ;   in Loop: Header=BB2_49 Depth=1
	s_mov_b64 s[20:21], -1
	s_and_saveexec_b64 s[58:59], s[14:15]
	s_cbranch_execz .LBB2_120
; %bb.119:                              ;   in Loop: Header=BB2_49 Depth=1
	ds_read_b32 v10, v0 offset:720
	s_waitcnt lgkmcnt(0)
	v_and_b32_e32 v10, 15, v10
	v_cmp_eq_u32_e32 vcc, 0, v10
	s_orn2_b64 s[20:21], vcc, exec
.LBB2_120:                              ;   in Loop: Header=BB2_49 Depth=1
	s_or_b64 exec, exec, s[58:59]
	s_and_saveexec_b64 s[58:59], s[16:17]
	s_cbranch_execz .LBB2_122
; %bb.121:                              ;   in Loop: Header=BB2_49 Depth=1
	ds_read_b32 v10, v0 offset:784
	s_waitcnt lgkmcnt(0)
	v_and_b32_e32 v10, 15, v10
	v_cmp_eq_u32_e32 vcc, 0, v10
	s_and_b64 s[60:61], s[20:21], vcc
	s_andn2_b64 s[20:21], s[20:21], exec
	s_and_b64 s[60:61], s[60:61], exec
	s_or_b64 s[20:21], s[20:21], s[60:61]
.LBB2_122:                              ;   in Loop: Header=BB2_49 Depth=1
	s_or_b64 exec, exec, s[58:59]
	v_cmp_eq_u32_e32 vcc, 0, v3
	s_xor_b64 s[20:21], s[20:21], -1
	v_cndmask_b32_e32 v3, 0, v2, vcc
	v_cndmask_b32_e64 v10, 0, 1, s[20:21]
	v_lshlrev_b32_e32 v37, 1, v3
	s_mov_b64 s[60:61], -1
	v_cmp_ne_u32_e32 vcc, 0, v10
	v_mov_b32_e32 v16, 0
	s_cbranch_vccz .LBB2_125
; %bb.123:                              ;   in Loop: Header=BB2_49 Depth=1
	v_mov_b32_e32 v17, v0
	s_and_saveexec_b64 s[20:21], s[60:61]
	s_cbranch_execnz .LBB2_200
	s_branch .LBB2_228
.LBB2_124:                              ;   in Loop: Header=BB2_49 Depth=1
	s_mov_b64 s[20:21], 0
	s_and_saveexec_b64 s[58:59], s[10:11]
	s_cbranch_execnz .LBB2_229
	s_branch .LBB2_247
.LBB2_125:                              ;   in Loop: Header=BB2_49 Depth=1
	v_lshlrev_b32_e32 v10, 4, v0
	v_sub_u32_e32 v31, v37, v10
	v_lshrrev_b32_e32 v10, 9, v3
	v_lshlrev_b32_e32 v47, 10, v10
	v_sub_u32_e32 v30, v37, v47
	v_cmp_lt_i32_e32 vcc, 15, v30
	s_waitcnt vmcnt(0)
	v_addc_co_u32_e64 v55, s[20:21], v10, v58, vcc
	v_cmp_lt_i32_e64 s[20:21], 15, v31
	s_and_saveexec_b64 s[58:59], s[20:21]
	s_cbranch_execz .LBB2_161
; %bb.126:                              ;   in Loop: Header=BB2_49 Depth=1
	s_trap 2
	buffer_load_dword v13, off, s[0:3], s33 offset:84 ; 4-byte Folded Reload
	ds_read_b64 v[10:11], v0
	v_lshlrev_b32_e32 v12, 4, v0
	v_add_co_u32_e64 v53, s[20:21], v49, v12
	s_mov_b64 s[60:61], 0
	s_waitcnt vmcnt(0)
	v_addc_co_u32_e64 v54, s[20:21], v50, v13, s[20:21]
	s_waitcnt lgkmcnt(0)
	v_add_co_u32_e64 v40, s[20:21], v10, v12
	v_addc_co_u32_e64 v41, s[20:21], v11, v13, s[20:21]
	v_add_co_u32_e64 v42, s[20:21], v51, v12
	v_addc_co_u32_e64 v43, s[20:21], v52, v13, s[20:21]
	s_branch .LBB2_128
.LBB2_127:                              ;   in Loop: Header=BB2_128 Depth=2
	s_or_b64 exec, exec, s[62:63]
	v_lshrrev_b32_e32 v14, 16, v14
	v_and_or_b32 v11, v11, s37, v14
	v_lshrrev_b32_e32 v14, 16, v57
	v_add_co_u32_e64 v53, s[20:21], v53, v59
	v_and_or_b32 v10, v10, s37, v14
	v_lshrrev_b32_e32 v14, 16, v15
	v_addc_co_u32_e64 v54, s[20:21], 0, v54, s[20:21]
	v_and_or_b32 v12, v12, s37, v14
	v_lshrrev_b32_e32 v14, 16, v16
	v_add_co_u32_e64 v40, s[20:21], v40, v59
	v_and_or_b32 v13, v13, s37, v14
	v_addc_co_u32_e64 v41, s[20:21], 0, v41, s[20:21]
	global_store_dwordx4 v[42:43], v[10:13], off glc slc
	v_add_co_u32_e64 v42, s[20:21], v42, v59
	v_addc_co_u32_e64 v43, s[20:21], 0, v43, s[20:21]
	v_sub_u32_e32 v31, v31, v59
	v_cmp_gt_i32_e64 s[20:21], 16, v31
	s_or_b64 s[60:61], s[20:21], s[60:61]
	v_sub_u32_e32 v55, v55, v46
	s_andn2_b64 exec, exec, s[60:61]
	s_cbranch_execz .LBB2_160
.LBB2_128:                              ;   Parent Loop BB2_49 Depth=1
                                        ; =>  This Inner Loop Header: Depth=2
	global_load_dwordx4 v[10:13], v[40:41], off glc slc
	global_load_dwordx4 v[14:17], v[53:54], off glc slc
	s_waitcnt vmcnt(1)
	v_lshlrev_b32_e32 v56, 16, v10
	s_waitcnt vmcnt(0)
	v_lshlrev_b32_e32 v57, 16, v14
	v_add_f32_e32 v56, v57, v56
	v_and_b32_e32 v57, 0x7f800000, v56
	v_cmp_ne_u32_e64 s[20:21], s35, v57
                                        ; implicit-def: $vgpr57
	s_and_saveexec_b64 s[62:63], s[20:21]
	s_xor_b64 s[20:21], exec, s[62:63]
; %bb.129:                              ;   in Loop: Header=BB2_128 Depth=2
	v_bfe_u32 v57, v56, 16, 1
	v_add3_u32 v57, v56, v57, s36
                                        ; implicit-def: $vgpr56
; %bb.130:                              ;   in Loop: Header=BB2_128 Depth=2
	s_andn2_saveexec_b64 s[62:63], s[20:21]
; %bb.131:                              ;   in Loop: Header=BB2_128 Depth=2
	v_or_b32_e32 v57, 0x10000, v56
	v_cmp_eq_u32_sdwa s[20:21], v56, v36 src0_sel:WORD_0 src1_sel:DWORD
	v_cndmask_b32_e64 v57, v57, v56, s[20:21]
; %bb.132:                              ;   in Loop: Header=BB2_128 Depth=2
	s_or_b64 exec, exec, s[62:63]
	v_and_b32_e32 v10, 0xffff0000, v10
	v_and_b32_e32 v14, 0xffff0000, v14
	v_add_f32_e32 v14, v14, v10
	v_and_b32_e32 v10, 0x7f800000, v14
	v_cmp_ne_u32_e64 s[20:21], s35, v10
                                        ; implicit-def: $vgpr10
	s_and_saveexec_b64 s[62:63], s[20:21]
	s_xor_b64 s[20:21], exec, s[62:63]
; %bb.133:                              ;   in Loop: Header=BB2_128 Depth=2
	v_bfe_u32 v10, v14, 16, 1
	v_add3_u32 v10, v14, v10, s36
                                        ; implicit-def: $vgpr14
; %bb.134:                              ;   in Loop: Header=BB2_128 Depth=2
	s_andn2_saveexec_b64 s[62:63], s[20:21]
; %bb.135:                              ;   in Loop: Header=BB2_128 Depth=2
	v_or_b32_e32 v10, 0x10000, v14
	v_cmp_eq_u32_sdwa s[20:21], v14, v36 src0_sel:WORD_0 src1_sel:DWORD
	v_cndmask_b32_e64 v10, v10, v14, s[20:21]
; %bb.136:                              ;   in Loop: Header=BB2_128 Depth=2
	s_or_b64 exec, exec, s[62:63]
	v_lshlrev_b32_e32 v14, 16, v11
	v_lshlrev_b32_e32 v56, 16, v15
	v_add_f32_e32 v56, v56, v14
	v_and_b32_e32 v14, 0x7f800000, v56
	v_cmp_ne_u32_e64 s[20:21], s35, v14
                                        ; implicit-def: $vgpr14
	s_and_saveexec_b64 s[62:63], s[20:21]
	s_xor_b64 s[20:21], exec, s[62:63]
; %bb.137:                              ;   in Loop: Header=BB2_128 Depth=2
	v_bfe_u32 v14, v56, 16, 1
	v_add3_u32 v14, v56, v14, s36
                                        ; implicit-def: $vgpr56
; %bb.138:                              ;   in Loop: Header=BB2_128 Depth=2
	s_andn2_saveexec_b64 s[62:63], s[20:21]
; %bb.139:                              ;   in Loop: Header=BB2_128 Depth=2
	v_or_b32_e32 v14, 0x10000, v56
	v_cmp_eq_u32_sdwa s[20:21], v56, v36 src0_sel:WORD_0 src1_sel:DWORD
	v_cndmask_b32_e64 v14, v14, v56, s[20:21]
; %bb.140:                              ;   in Loop: Header=BB2_128 Depth=2
	s_or_b64 exec, exec, s[62:63]
	v_and_b32_e32 v15, 0xffff0000, v15
	v_and_b32_e32 v11, 0xffff0000, v11
	v_add_f32_e32 v15, v15, v11
	v_and_b32_e32 v11, 0x7f800000, v15
	v_cmp_ne_u32_e64 s[20:21], s35, v11
                                        ; implicit-def: $vgpr11
	s_and_saveexec_b64 s[62:63], s[20:21]
	s_xor_b64 s[20:21], exec, s[62:63]
; %bb.141:                              ;   in Loop: Header=BB2_128 Depth=2
	v_bfe_u32 v11, v15, 16, 1
	v_add3_u32 v11, v15, v11, s36
                                        ; implicit-def: $vgpr15
; %bb.142:                              ;   in Loop: Header=BB2_128 Depth=2
	s_andn2_saveexec_b64 s[62:63], s[20:21]
; %bb.143:                              ;   in Loop: Header=BB2_128 Depth=2
	v_or_b32_e32 v11, 0x10000, v15
	v_cmp_eq_u32_sdwa s[20:21], v15, v36 src0_sel:WORD_0 src1_sel:DWORD
	v_cndmask_b32_e64 v11, v11, v15, s[20:21]
; %bb.144:                              ;   in Loop: Header=BB2_128 Depth=2
	s_or_b64 exec, exec, s[62:63]
	v_lshlrev_b32_e32 v15, 16, v12
	v_lshlrev_b32_e32 v56, 16, v16
	v_add_f32_e32 v56, v56, v15
	v_and_b32_e32 v15, 0x7f800000, v56
	v_cmp_ne_u32_e64 s[20:21], s35, v15
                                        ; implicit-def: $vgpr15
	s_and_saveexec_b64 s[62:63], s[20:21]
	s_xor_b64 s[20:21], exec, s[62:63]
; %bb.145:                              ;   in Loop: Header=BB2_128 Depth=2
	v_bfe_u32 v15, v56, 16, 1
	v_add3_u32 v15, v56, v15, s36
                                        ; implicit-def: $vgpr56
; %bb.146:                              ;   in Loop: Header=BB2_128 Depth=2
	s_andn2_saveexec_b64 s[62:63], s[20:21]
; %bb.147:                              ;   in Loop: Header=BB2_128 Depth=2
	v_or_b32_e32 v15, 0x10000, v56
	v_cmp_eq_u32_sdwa s[20:21], v56, v36 src0_sel:WORD_0 src1_sel:DWORD
	v_cndmask_b32_e64 v15, v15, v56, s[20:21]
; %bb.148:                              ;   in Loop: Header=BB2_128 Depth=2
	s_or_b64 exec, exec, s[62:63]
	v_and_b32_e32 v16, 0xffff0000, v16
	v_and_b32_e32 v12, 0xffff0000, v12
	v_add_f32_e32 v16, v16, v12
	v_and_b32_e32 v12, 0x7f800000, v16
	v_cmp_ne_u32_e64 s[20:21], s35, v12
                                        ; implicit-def: $vgpr12
	s_and_saveexec_b64 s[62:63], s[20:21]
	s_xor_b64 s[20:21], exec, s[62:63]
; %bb.149:                              ;   in Loop: Header=BB2_128 Depth=2
	v_bfe_u32 v12, v16, 16, 1
	v_add3_u32 v12, v16, v12, s36
                                        ; implicit-def: $vgpr16
; %bb.150:                              ;   in Loop: Header=BB2_128 Depth=2
	s_andn2_saveexec_b64 s[62:63], s[20:21]
; %bb.151:                              ;   in Loop: Header=BB2_128 Depth=2
	v_or_b32_e32 v12, 0x10000, v16
	v_cmp_eq_u32_sdwa s[20:21], v16, v36 src0_sel:WORD_0 src1_sel:DWORD
	v_cndmask_b32_e64 v12, v12, v16, s[20:21]
; %bb.152:                              ;   in Loop: Header=BB2_128 Depth=2
	s_or_b64 exec, exec, s[62:63]
	v_lshlrev_b32_e32 v16, 16, v13
	v_lshlrev_b32_e32 v56, 16, v17
	v_add_f32_e32 v56, v56, v16
	v_and_b32_e32 v16, 0x7f800000, v56
	v_cmp_ne_u32_e64 s[20:21], s35, v16
                                        ; implicit-def: $vgpr16
	s_and_saveexec_b64 s[62:63], s[20:21]
	s_xor_b64 s[20:21], exec, s[62:63]
; %bb.153:                              ;   in Loop: Header=BB2_128 Depth=2
	v_bfe_u32 v16, v56, 16, 1
	v_add3_u32 v16, v56, v16, s36
                                        ; implicit-def: $vgpr56
; %bb.154:                              ;   in Loop: Header=BB2_128 Depth=2
	s_andn2_saveexec_b64 s[62:63], s[20:21]
; %bb.155:                              ;   in Loop: Header=BB2_128 Depth=2
	v_or_b32_e32 v16, 0x10000, v56
	v_cmp_eq_u32_sdwa s[20:21], v56, v36 src0_sel:WORD_0 src1_sel:DWORD
	v_cndmask_b32_e64 v16, v16, v56, s[20:21]
; %bb.156:                              ;   in Loop: Header=BB2_128 Depth=2
	s_or_b64 exec, exec, s[62:63]
	v_and_b32_e32 v17, 0xffff0000, v17
	v_and_b32_e32 v13, 0xffff0000, v13
	v_add_f32_e32 v17, v17, v13
	v_and_b32_e32 v13, 0x7f800000, v17
	v_cmp_ne_u32_e64 s[20:21], s35, v13
                                        ; implicit-def: $vgpr13
	s_and_saveexec_b64 s[62:63], s[20:21]
	s_xor_b64 s[20:21], exec, s[62:63]
; %bb.157:                              ;   in Loop: Header=BB2_128 Depth=2
	v_bfe_u32 v13, v17, 16, 1
	v_add3_u32 v13, v17, v13, s36
                                        ; implicit-def: $vgpr17
; %bb.158:                              ;   in Loop: Header=BB2_128 Depth=2
	s_andn2_saveexec_b64 s[62:63], s[20:21]
	s_cbranch_execz .LBB2_127
; %bb.159:                              ;   in Loop: Header=BB2_128 Depth=2
	v_or_b32_e32 v13, 0x10000, v17
	v_cmp_eq_u32_sdwa s[20:21], v17, v36 src0_sel:WORD_0 src1_sel:DWORD
	v_cndmask_b32_e64 v13, v13, v17, s[20:21]
	s_branch .LBB2_127
.LBB2_160:                              ;   in Loop: Header=BB2_49 Depth=1
	s_or_b64 exec, exec, s[60:61]
	v_mov_b32_e32 v53, 1
.LBB2_161:                              ;   in Loop: Header=BB2_49 Depth=1
	s_or_b64 exec, exec, s[58:59]
	v_and_b32_e32 v10, 14, v37
	v_cndmask_b32_e32 v57, v30, v10, vcc
	v_mov_b32_e32 v16, 0
	v_cmp_ne_u32_e64 s[20:21], 0, v57
	s_mov_b64 s[60:61], 0
                                        ; implicit-def: $vgpr37
                                        ; implicit-def: $vgpr17
	s_and_saveexec_b64 s[58:59], s[20:21]
	s_cbranch_execz .LBB2_199
; %bb.162:                              ;   in Loop: Header=BB2_49 Depth=1
	buffer_load_dword v11, off, s[0:3], s33 offset:76 ; 4-byte Folded Reload
	v_sub_u32_e32 v10, v30, v10
	v_cndmask_b32_e32 v10, 0, v10, vcc
	v_cmp_lt_i32_e32 vcc, 0, v55
	v_add_u32_e32 v37, v10, v47
	v_cndmask_b32_e32 v10, 0, v46, vcc
	v_sub_u32_e32 v10, v10, v55
	s_waitcnt vmcnt(0)
	v_lshl_add_u32 v10, v10, 6, v11
	v_ashrrev_i32_e32 v11, 31, v10
	v_lshrrev_b32_e32 v11, 26, v11
	v_add_u32_e32 v11, v10, v11
	v_ashrrev_i32_e32 v12, 6, v11
	v_and_b32_e32 v11, 0xffffffc0, v11
	v_sub_u32_e32 v47, v10, v11
	v_ashrrev_i32_e32 v11, 31, v57
	v_lshrrev_b32_e32 v11, 22, v11
	v_add_u32_e32 v11, v57, v11
	v_and_b32_e32 v30, 0xfffffc00, v11
	v_lshlrev_b32_e32 v10, 4, v47
	v_sub_u32_e32 v55, v57, v30
	v_lshl_add_u32 v10, v12, 10, v10
	v_ashrrev_i32_e32 v13, 10, v11
	v_cmp_lt_i32_e32 vcc, 15, v55
	v_sub_u32_e32 v31, v57, v10
	v_addc_co_u32_e64 v11, s[20:21], 0, v13, vcc
	v_sub_u32_e32 v58, v11, v12
	v_cmp_lt_i32_e64 s[20:21], 15, v31
	s_and_saveexec_b64 s[60:61], s[20:21]
	s_cbranch_execz .LBB2_198
; %bb.163:                              ;   in Loop: Header=BB2_49 Depth=1
	v_add_u32_e32 v12, v10, v37
	s_trap 2
	ds_read_b64 v[10:11], v0
	v_ashrrev_i32_e32 v13, 31, v12
	v_add_co_u32_e64 v53, s[20:21], v12, v49
	v_addc_co_u32_e64 v54, s[20:21], v13, v50, s[20:21]
	s_waitcnt lgkmcnt(0)
	v_add_co_u32_e64 v40, s[20:21], v10, v12
	v_addc_co_u32_e64 v41, s[20:21], v11, v13, s[20:21]
	v_add_co_u32_e64 v42, s[20:21], v12, v51
	v_addc_co_u32_e64 v43, s[20:21], v13, v52, s[20:21]
	s_mov_b64 s[62:63], 0
	s_branch .LBB2_165
.LBB2_164:                              ;   in Loop: Header=BB2_165 Depth=2
	s_or_b64 exec, exec, s[72:73]
	v_lshrrev_b32_e32 v14, 16, v14
	v_and_or_b32 v11, v11, s37, v14
	v_lshrrev_b32_e32 v14, 16, v56
	v_add_co_u32_e64 v53, s[20:21], v53, v59
	v_and_or_b32 v10, v10, s37, v14
	v_lshrrev_b32_e32 v14, 16, v15
	v_addc_co_u32_e64 v54, s[20:21], 0, v54, s[20:21]
	v_and_or_b32 v12, v12, s37, v14
	v_lshrrev_b32_e32 v14, 16, v16
	v_add_co_u32_e64 v40, s[20:21], v40, v59
	v_and_or_b32 v13, v13, s37, v14
	v_addc_co_u32_e64 v41, s[20:21], 0, v41, s[20:21]
	global_store_dwordx4 v[42:43], v[10:13], off glc slc
	v_add_co_u32_e64 v42, s[20:21], v42, v59
	v_addc_co_u32_e64 v43, s[20:21], 0, v43, s[20:21]
	v_sub_u32_e32 v31, v31, v59
	v_cmp_gt_i32_e64 s[20:21], 16, v31
	s_or_b64 s[62:63], s[20:21], s[62:63]
	v_sub_u32_e32 v58, v58, v46
	s_andn2_b64 exec, exec, s[62:63]
	s_cbranch_execz .LBB2_197
.LBB2_165:                              ;   Parent Loop BB2_49 Depth=1
                                        ; =>  This Inner Loop Header: Depth=2
	global_load_dwordx4 v[10:13], v[40:41], off glc slc
	global_load_dwordx4 v[14:17], v[53:54], off glc slc
	s_waitcnt vmcnt(1)
	v_lshlrev_b32_e32 v56, 16, v10
	s_waitcnt vmcnt(0)
	v_lshlrev_b32_e32 v62, 16, v14
	v_add_f32_e32 v62, v62, v56
	v_and_b32_e32 v56, 0x7f800000, v62
	v_cmp_ne_u32_e64 s[20:21], s35, v56
                                        ; implicit-def: $vgpr56
	s_and_saveexec_b64 s[72:73], s[20:21]
	s_xor_b64 s[20:21], exec, s[72:73]
; %bb.166:                              ;   in Loop: Header=BB2_165 Depth=2
	v_bfe_u32 v56, v62, 16, 1
	v_add3_u32 v56, v62, v56, s36
                                        ; implicit-def: $vgpr62
; %bb.167:                              ;   in Loop: Header=BB2_165 Depth=2
	s_andn2_saveexec_b64 s[72:73], s[20:21]
; %bb.168:                              ;   in Loop: Header=BB2_165 Depth=2
	v_or_b32_e32 v56, 0x10000, v62
	v_cmp_eq_u32_sdwa s[20:21], v62, v36 src0_sel:WORD_0 src1_sel:DWORD
	v_cndmask_b32_e64 v56, v56, v62, s[20:21]
; %bb.169:                              ;   in Loop: Header=BB2_165 Depth=2
	s_or_b64 exec, exec, s[72:73]
	v_and_b32_e32 v10, 0xffff0000, v10
	v_and_b32_e32 v14, 0xffff0000, v14
	v_add_f32_e32 v14, v14, v10
	v_and_b32_e32 v10, 0x7f800000, v14
	v_cmp_ne_u32_e64 s[20:21], s35, v10
                                        ; implicit-def: $vgpr10
	s_and_saveexec_b64 s[72:73], s[20:21]
	s_xor_b64 s[20:21], exec, s[72:73]
; %bb.170:                              ;   in Loop: Header=BB2_165 Depth=2
	v_bfe_u32 v10, v14, 16, 1
	v_add3_u32 v10, v14, v10, s36
                                        ; implicit-def: $vgpr14
; %bb.171:                              ;   in Loop: Header=BB2_165 Depth=2
	s_andn2_saveexec_b64 s[72:73], s[20:21]
; %bb.172:                              ;   in Loop: Header=BB2_165 Depth=2
	v_or_b32_e32 v10, 0x10000, v14
	v_cmp_eq_u32_sdwa s[20:21], v14, v36 src0_sel:WORD_0 src1_sel:DWORD
	v_cndmask_b32_e64 v10, v10, v14, s[20:21]
; %bb.173:                              ;   in Loop: Header=BB2_165 Depth=2
	s_or_b64 exec, exec, s[72:73]
	v_lshlrev_b32_e32 v14, 16, v11
	v_lshlrev_b32_e32 v62, 16, v15
	v_add_f32_e32 v62, v62, v14
	v_and_b32_e32 v14, 0x7f800000, v62
	v_cmp_ne_u32_e64 s[20:21], s35, v14
                                        ; implicit-def: $vgpr14
	s_and_saveexec_b64 s[72:73], s[20:21]
	s_xor_b64 s[20:21], exec, s[72:73]
; %bb.174:                              ;   in Loop: Header=BB2_165 Depth=2
	v_bfe_u32 v14, v62, 16, 1
	v_add3_u32 v14, v62, v14, s36
                                        ; implicit-def: $vgpr62
; %bb.175:                              ;   in Loop: Header=BB2_165 Depth=2
	s_andn2_saveexec_b64 s[72:73], s[20:21]
; %bb.176:                              ;   in Loop: Header=BB2_165 Depth=2
	v_or_b32_e32 v14, 0x10000, v62
	v_cmp_eq_u32_sdwa s[20:21], v62, v36 src0_sel:WORD_0 src1_sel:DWORD
	v_cndmask_b32_e64 v14, v14, v62, s[20:21]
; %bb.177:                              ;   in Loop: Header=BB2_165 Depth=2
	s_or_b64 exec, exec, s[72:73]
	v_and_b32_e32 v15, 0xffff0000, v15
	v_and_b32_e32 v11, 0xffff0000, v11
	v_add_f32_e32 v15, v15, v11
	v_and_b32_e32 v11, 0x7f800000, v15
	v_cmp_ne_u32_e64 s[20:21], s35, v11
                                        ; implicit-def: $vgpr11
	s_and_saveexec_b64 s[72:73], s[20:21]
	s_xor_b64 s[20:21], exec, s[72:73]
; %bb.178:                              ;   in Loop: Header=BB2_165 Depth=2
	v_bfe_u32 v11, v15, 16, 1
	v_add3_u32 v11, v15, v11, s36
                                        ; implicit-def: $vgpr15
; %bb.179:                              ;   in Loop: Header=BB2_165 Depth=2
	s_andn2_saveexec_b64 s[72:73], s[20:21]
; %bb.180:                              ;   in Loop: Header=BB2_165 Depth=2
	v_or_b32_e32 v11, 0x10000, v15
	v_cmp_eq_u32_sdwa s[20:21], v15, v36 src0_sel:WORD_0 src1_sel:DWORD
	v_cndmask_b32_e64 v11, v11, v15, s[20:21]
; %bb.181:                              ;   in Loop: Header=BB2_165 Depth=2
	s_or_b64 exec, exec, s[72:73]
	v_lshlrev_b32_e32 v15, 16, v12
	v_lshlrev_b32_e32 v62, 16, v16
	v_add_f32_e32 v62, v62, v15
	v_and_b32_e32 v15, 0x7f800000, v62
	v_cmp_ne_u32_e64 s[20:21], s35, v15
                                        ; implicit-def: $vgpr15
	s_and_saveexec_b64 s[72:73], s[20:21]
	s_xor_b64 s[20:21], exec, s[72:73]
; %bb.182:                              ;   in Loop: Header=BB2_165 Depth=2
	v_bfe_u32 v15, v62, 16, 1
	v_add3_u32 v15, v62, v15, s36
                                        ; implicit-def: $vgpr62
; %bb.183:                              ;   in Loop: Header=BB2_165 Depth=2
	s_andn2_saveexec_b64 s[72:73], s[20:21]
; %bb.184:                              ;   in Loop: Header=BB2_165 Depth=2
	v_or_b32_e32 v15, 0x10000, v62
	v_cmp_eq_u32_sdwa s[20:21], v62, v36 src0_sel:WORD_0 src1_sel:DWORD
	v_cndmask_b32_e64 v15, v15, v62, s[20:21]
; %bb.185:                              ;   in Loop: Header=BB2_165 Depth=2
	s_or_b64 exec, exec, s[72:73]
	v_and_b32_e32 v16, 0xffff0000, v16
	v_and_b32_e32 v12, 0xffff0000, v12
	v_add_f32_e32 v16, v16, v12
	v_and_b32_e32 v12, 0x7f800000, v16
	v_cmp_ne_u32_e64 s[20:21], s35, v12
                                        ; implicit-def: $vgpr12
	s_and_saveexec_b64 s[72:73], s[20:21]
	s_xor_b64 s[20:21], exec, s[72:73]
; %bb.186:                              ;   in Loop: Header=BB2_165 Depth=2
	v_bfe_u32 v12, v16, 16, 1
	v_add3_u32 v12, v16, v12, s36
                                        ; implicit-def: $vgpr16
; %bb.187:                              ;   in Loop: Header=BB2_165 Depth=2
	s_andn2_saveexec_b64 s[72:73], s[20:21]
; %bb.188:                              ;   in Loop: Header=BB2_165 Depth=2
	v_or_b32_e32 v12, 0x10000, v16
	v_cmp_eq_u32_sdwa s[20:21], v16, v36 src0_sel:WORD_0 src1_sel:DWORD
	v_cndmask_b32_e64 v12, v12, v16, s[20:21]
; %bb.189:                              ;   in Loop: Header=BB2_165 Depth=2
	s_or_b64 exec, exec, s[72:73]
	v_lshlrev_b32_e32 v16, 16, v13
	v_lshlrev_b32_e32 v62, 16, v17
	v_add_f32_e32 v62, v62, v16
	v_and_b32_e32 v16, 0x7f800000, v62
	v_cmp_ne_u32_e64 s[20:21], s35, v16
                                        ; implicit-def: $vgpr16
	s_and_saveexec_b64 s[72:73], s[20:21]
	s_xor_b64 s[20:21], exec, s[72:73]
; %bb.190:                              ;   in Loop: Header=BB2_165 Depth=2
	v_bfe_u32 v16, v62, 16, 1
	v_add3_u32 v16, v62, v16, s36
                                        ; implicit-def: $vgpr62
; %bb.191:                              ;   in Loop: Header=BB2_165 Depth=2
	s_andn2_saveexec_b64 s[72:73], s[20:21]
; %bb.192:                              ;   in Loop: Header=BB2_165 Depth=2
	v_or_b32_e32 v16, 0x10000, v62
	v_cmp_eq_u32_sdwa s[20:21], v62, v36 src0_sel:WORD_0 src1_sel:DWORD
	v_cndmask_b32_e64 v16, v16, v62, s[20:21]
; %bb.193:                              ;   in Loop: Header=BB2_165 Depth=2
	s_or_b64 exec, exec, s[72:73]
	v_and_b32_e32 v17, 0xffff0000, v17
	v_and_b32_e32 v13, 0xffff0000, v13
	v_add_f32_e32 v17, v17, v13
	v_and_b32_e32 v13, 0x7f800000, v17
	v_cmp_ne_u32_e64 s[20:21], s35, v13
                                        ; implicit-def: $vgpr13
	s_and_saveexec_b64 s[72:73], s[20:21]
	s_xor_b64 s[20:21], exec, s[72:73]
; %bb.194:                              ;   in Loop: Header=BB2_165 Depth=2
	v_bfe_u32 v13, v17, 16, 1
	v_add3_u32 v13, v17, v13, s36
                                        ; implicit-def: $vgpr17
; %bb.195:                              ;   in Loop: Header=BB2_165 Depth=2
	s_andn2_saveexec_b64 s[72:73], s[20:21]
	s_cbranch_execz .LBB2_164
; %bb.196:                              ;   in Loop: Header=BB2_165 Depth=2
	v_or_b32_e32 v13, 0x10000, v17
	v_cmp_eq_u32_sdwa s[20:21], v17, v36 src0_sel:WORD_0 src1_sel:DWORD
	v_cndmask_b32_e64 v13, v13, v17, s[20:21]
	s_branch .LBB2_164
.LBB2_197:                              ;   in Loop: Header=BB2_49 Depth=1
	s_or_b64 exec, exec, s[62:63]
	v_ashrrev_i32_e32 v62, 31, v45
	v_mov_b32_e32 v53, 1
.LBB2_198:                              ;   in Loop: Header=BB2_49 Depth=1
	s_or_b64 exec, exec, s[60:61]
	v_and_b32_e32 v10, 14, v57
	v_sub_u32_e32 v11, v55, v10
	v_cndmask_b32_e32 v11, 0, v11, vcc
	v_add3_u32 v16, v30, v37, v11
	v_cndmask_b32_e32 v37, v55, v10, vcc
	v_cmp_lt_i32_e32 vcc, 0, v58
	v_cndmask_b32_e32 v10, 0, v46, vcc
	v_sub_u32_e32 v10, v10, v58
	buffer_load_dword v58, off, s[0:3], s33 offset:80 ; 4-byte Folded Reload
	v_cmp_ne_u32_e32 vcc, 0, v37
	v_lshl_add_u32 v17, v10, 6, v47
	s_and_b64 s[60:61], vcc, exec
.LBB2_199:                              ;   in Loop: Header=BB2_49 Depth=1
	s_or_b64 exec, exec, s[58:59]
	s_and_saveexec_b64 s[20:21], s[60:61]
	s_cbranch_execz .LBB2_228
.LBB2_200:                              ;   in Loop: Header=BB2_49 Depth=1
	v_ashrrev_i32_e32 v10, 31, v17
	v_ashrrev_i32_e32 v11, 31, v37
	v_lshrrev_b32_e32 v10, 26, v10
	v_lshrrev_b32_e32 v11, 23, v11
	v_add_u32_e32 v10, v17, v10
	v_add_u32_e32 v11, v37, v11
	v_ashrrev_i32_e32 v30, 6, v10
	v_ashrrev_i32_e32 v53, 9, v11
	v_sub_u32_e32 v31, v53, v30
	v_cmp_lt_i32_e32 vcc, 0, v31
	s_and_saveexec_b64 s[58:59], vcc
	s_cbranch_execz .LBB2_220
; %bb.201:                              ;   in Loop: Header=BB2_49 Depth=1
	v_and_b32_e32 v10, 0x7fffffc0, v10
	v_sub_u32_e32 v10, v17, v10
	s_trap 2
	ds_read_b64 v[12:13], v0
	v_lshlrev_b32_e32 v10, 1, v10
	v_lshlrev_b32_e32 v11, 9, v30
	v_add3_u32 v14, v10, v16, v11
	v_ashrrev_i32_e32 v15, 31, v14
	v_add_co_u32_e32 v10, vcc, v14, v49
	v_addc_co_u32_e32 v11, vcc, v15, v50, vcc
	s_waitcnt lgkmcnt(0)
	v_add_co_u32_e32 v12, vcc, v12, v14
	v_addc_co_u32_e32 v13, vcc, v13, v15, vcc
	v_add_co_u32_e32 v14, vcc, v14, v51
	v_addc_co_u32_e32 v15, vcc, v15, v52, vcc
	s_mov_b64 s[60:61], 0
	s_branch .LBB2_203
.LBB2_202:                              ;   in Loop: Header=BB2_203 Depth=2
	s_or_b64 exec, exec, s[62:63]
	v_add_co_u32_e32 v10, vcc, v10, v60
	v_addc_co_u32_e32 v11, vcc, 0, v11, vcc
	v_add_co_u32_e32 v12, vcc, v12, v60
	v_addc_co_u32_e32 v13, vcc, 0, v13, vcc
	v_sub_u32_e32 v31, v31, v46
	v_cmp_gt_i32_e32 vcc, 1, v31
	flat_store_short_d16_hi v[14:15], v54 glc slc
	flat_store_short_d16_hi v[14:15], v41 offset:128 glc slc
	flat_store_short_d16_hi v[14:15], v42 offset:256 glc slc
	;; [unrolled: 1-line block ×3, first 2 shown]
	s_or_b64 s[60:61], vcc, s[60:61]
	v_add_co_u32_e32 v14, vcc, v14, v60
	v_addc_co_u32_e32 v15, vcc, 0, v15, vcc
	s_andn2_b64 exec, exec, s[60:61]
	s_cbranch_execz .LBB2_219
.LBB2_203:                              ;   Parent Loop BB2_49 Depth=1
                                        ; =>  This Inner Loop Header: Depth=2
	flat_load_ushort v54, v[12:13] glc slc
	flat_load_ushort v42, v[10:11] offset:256 glc slc
	flat_load_ushort v55, v[10:11] offset:384 glc slc
	flat_load_ushort v56, v[10:11] glc slc
	flat_load_ushort v41, v[10:11] offset:128 glc slc
	flat_load_ushort v43, v[12:13] offset:256 glc slc
	;; [unrolled: 1-line block ×4, first 2 shown]
	s_waitcnt vmcnt(0) lgkmcnt(0)
	v_lshlrev_b32_e32 v54, 16, v54
	v_lshlrev_b32_e32 v56, 16, v56
	v_add_f32_e32 v56, v56, v54
	v_and_b32_e32 v54, 0x7f800000, v56
	v_cmp_ne_u32_e32 vcc, s35, v54
                                        ; implicit-def: $vgpr54
	s_and_saveexec_b64 s[62:63], vcc
	s_xor_b64 s[62:63], exec, s[62:63]
; %bb.204:                              ;   in Loop: Header=BB2_203 Depth=2
	v_bfe_u32 v54, v56, 16, 1
	v_add3_u32 v54, v56, v54, s36
                                        ; implicit-def: $vgpr56
; %bb.205:                              ;   in Loop: Header=BB2_203 Depth=2
	s_andn2_saveexec_b64 s[62:63], s[62:63]
; %bb.206:                              ;   in Loop: Header=BB2_203 Depth=2
	v_or_b32_e32 v54, 0x10000, v56
	v_cmp_eq_u32_sdwa vcc, v56, v36 src0_sel:WORD_0 src1_sel:DWORD
	v_cndmask_b32_e32 v54, v54, v56, vcc
; %bb.207:                              ;   in Loop: Header=BB2_203 Depth=2
	s_or_b64 exec, exec, s[62:63]
	v_lshlrev_b32_e32 v41, 16, v41
	v_lshlrev_b32_e32 v47, 16, v47
	v_add_f32_e32 v47, v41, v47
	v_and_b32_e32 v41, 0x7f800000, v47
	v_cmp_ne_u32_e32 vcc, s35, v41
                                        ; implicit-def: $vgpr41
	s_and_saveexec_b64 s[62:63], vcc
	s_xor_b64 s[62:63], exec, s[62:63]
; %bb.208:                              ;   in Loop: Header=BB2_203 Depth=2
	v_bfe_u32 v41, v47, 16, 1
	v_add3_u32 v41, v47, v41, s36
                                        ; implicit-def: $vgpr47
; %bb.209:                              ;   in Loop: Header=BB2_203 Depth=2
	s_andn2_saveexec_b64 s[62:63], s[62:63]
; %bb.210:                              ;   in Loop: Header=BB2_203 Depth=2
	v_or_b32_e32 v41, 0x10000, v47
	v_cmp_eq_u32_sdwa vcc, v47, v36 src0_sel:WORD_0 src1_sel:DWORD
	v_cndmask_b32_e32 v41, v41, v47, vcc
; %bb.211:                              ;   in Loop: Header=BB2_203 Depth=2
	s_or_b64 exec, exec, s[62:63]
	v_lshlrev_b32_e32 v42, 16, v42
	v_lshlrev_b32_e32 v43, 16, v43
	v_add_f32_e32 v43, v42, v43
	v_and_b32_e32 v42, 0x7f800000, v43
	v_cmp_ne_u32_e32 vcc, s35, v42
                                        ; implicit-def: $vgpr42
	s_and_saveexec_b64 s[62:63], vcc
	s_xor_b64 s[62:63], exec, s[62:63]
; %bb.212:                              ;   in Loop: Header=BB2_203 Depth=2
	v_bfe_u32 v42, v43, 16, 1
	v_add3_u32 v42, v43, v42, s36
                                        ; implicit-def: $vgpr43
; %bb.213:                              ;   in Loop: Header=BB2_203 Depth=2
	s_andn2_saveexec_b64 s[62:63], s[62:63]
; %bb.214:                              ;   in Loop: Header=BB2_203 Depth=2
	v_or_b32_e32 v42, 0x10000, v43
	v_cmp_eq_u32_sdwa vcc, v43, v36 src0_sel:WORD_0 src1_sel:DWORD
	v_cndmask_b32_e32 v42, v42, v43, vcc
; %bb.215:                              ;   in Loop: Header=BB2_203 Depth=2
	s_or_b64 exec, exec, s[62:63]
	v_lshlrev_b32_e32 v55, 16, v55
	v_lshlrev_b32_e32 v40, 16, v40
	v_add_f32_e32 v40, v55, v40
	v_and_b32_e32 v55, 0x7f800000, v40
	v_cmp_ne_u32_e32 vcc, s35, v55
                                        ; implicit-def: $vgpr55
	s_and_saveexec_b64 s[62:63], vcc
	s_xor_b64 s[62:63], exec, s[62:63]
; %bb.216:                              ;   in Loop: Header=BB2_203 Depth=2
	v_bfe_u32 v55, v40, 16, 1
	v_add3_u32 v55, v40, v55, s36
                                        ; implicit-def: $vgpr40
; %bb.217:                              ;   in Loop: Header=BB2_203 Depth=2
	s_andn2_saveexec_b64 s[62:63], s[62:63]
	s_cbranch_execz .LBB2_202
; %bb.218:                              ;   in Loop: Header=BB2_203 Depth=2
	v_or_b32_e32 v55, 0x10000, v40
	v_cmp_eq_u32_sdwa vcc, v40, v36 src0_sel:WORD_0 src1_sel:DWORD
	v_cndmask_b32_e32 v55, v55, v40, vcc
	s_branch .LBB2_202
.LBB2_219:                              ;   in Loop: Header=BB2_49 Depth=1
	s_or_b64 exec, exec, s[60:61]
.LBB2_220:                              ;   in Loop: Header=BB2_49 Depth=1
	s_or_b64 exec, exec, s[58:59]
	v_lshlrev_b32_e32 v10, 9, v53
	v_cmp_ne_u32_e32 vcc, v37, v10
	s_and_b64 s[58:59], exec, vcc
	v_mov_b32_e32 v53, 1
	s_mov_b64 exec, s[58:59]
	s_cbranch_execz .LBB2_228
; %bb.221:                              ;   in Loop: Header=BB2_49 Depth=1
	v_lshlrev_b32_e32 v11, 6, v30
	v_sub_u32_e32 v11, v17, v11
	v_lshlrev_b32_e32 v12, 6, v31
	v_sub_u32_e32 v11, v11, v12
	v_ashrrev_i32_e32 v12, 31, v11
	v_lshrrev_b32_e32 v12, 26, v12
	v_add_u32_e32 v12, v11, v12
	v_and_b32_e32 v13, 0x7fffffc0, v12
	v_sub_u32_e32 v11, v11, v13
	v_lshlrev_b32_e32 v12, 1, v12
	v_and_b32_e32 v12, 0xffffff80, v12
	v_lshlrev_b32_e32 v11, 1, v11
	v_add3_u32 v10, v12, v11, v10
	v_sub_u32_e32 v17, v37, v10
	v_cmp_lt_i32_e32 vcc, 1, v17
	s_and_b64 exec, exec, vcc
	s_cbranch_execz .LBB2_228
; %bb.222:                              ;   in Loop: Header=BB2_49 Depth=1
	s_trap 2
	ds_read_b64 v[12:13], v0
	v_add_u32_e32 v14, v10, v16
	v_ashrrev_i32_e32 v15, 31, v14
	v_add_co_u32_e32 v10, vcc, v14, v49
	v_addc_co_u32_e32 v11, vcc, v15, v50, vcc
	s_waitcnt lgkmcnt(0)
	v_add_co_u32_e32 v12, vcc, v12, v14
	v_addc_co_u32_e32 v13, vcc, v13, v15, vcc
	v_add_co_u32_e32 v14, vcc, v14, v51
	v_addc_co_u32_e32 v15, vcc, v15, v52, vcc
	s_mov_b64 s[58:59], 0
	s_branch .LBB2_224
.LBB2_223:                              ;   in Loop: Header=BB2_224 Depth=2
	s_or_b64 exec, exec, s[60:61]
	v_add_co_u32_e32 v10, vcc, v10, v61
	v_addc_co_u32_e32 v11, vcc, 0, v11, vcc
	v_add_co_u32_e32 v12, vcc, v12, v61
	v_addc_co_u32_e32 v13, vcc, 0, v13, vcc
	v_sub_u32_e32 v17, v17, v61
	v_cmp_gt_i32_e32 vcc, 2, v17
	flat_store_short_d16_hi v[14:15], v30 glc slc
	s_or_b64 s[58:59], vcc, s[58:59]
	v_add_co_u32_e32 v14, vcc, v14, v61
	v_addc_co_u32_e32 v15, vcc, 0, v15, vcc
	s_andn2_b64 exec, exec, s[58:59]
	s_cbranch_execz .LBB2_228
.LBB2_224:                              ;   Parent Loop BB2_49 Depth=1
                                        ; =>  This Inner Loop Header: Depth=2
	flat_load_ushort v16, v[12:13] glc slc
	flat_load_ushort v30, v[10:11] glc slc
	s_waitcnt vmcnt(0) lgkmcnt(0)
	v_lshlrev_b32_e32 v16, 16, v16
	v_lshlrev_b32_e32 v30, 16, v30
	v_add_f32_e32 v16, v30, v16
	v_and_b32_e32 v30, 0x7f800000, v16
	v_cmp_ne_u32_e32 vcc, s35, v30
                                        ; implicit-def: $vgpr30
	s_and_saveexec_b64 s[60:61], vcc
	s_xor_b64 s[60:61], exec, s[60:61]
; %bb.225:                              ;   in Loop: Header=BB2_224 Depth=2
	v_bfe_u32 v30, v16, 16, 1
	v_add3_u32 v30, v16, v30, s36
                                        ; implicit-def: $vgpr16
; %bb.226:                              ;   in Loop: Header=BB2_224 Depth=2
	s_andn2_saveexec_b64 s[60:61], s[60:61]
	s_cbranch_execz .LBB2_223
; %bb.227:                              ;   in Loop: Header=BB2_224 Depth=2
	v_or_b32_e32 v30, 0x10000, v16
	v_cmp_eq_u32_sdwa vcc, v16, v36 src0_sel:WORD_0 src1_sel:DWORD
	v_cndmask_b32_e32 v30, v30, v16, vcc
	s_branch .LBB2_223
.LBB2_228:                              ;   in Loop: Header=BB2_49 Depth=1
	s_or_b64 exec, exec, s[20:21]
	v_cmp_ne_u32_e64 s[20:21], 0, v3
	v_mov_b32_e32 v16, 0xc8
	v_mov_b32_e32 v17, 0x90
	s_and_saveexec_b64 s[58:59], s[10:11]
	s_cbranch_execz .LBB2_247
.LBB2_229:                              ;   in Loop: Header=BB2_49 Depth=1
	s_and_saveexec_b64 s[60:61], s[40:41]
	s_xor_b64 s[60:61], exec, s[60:61]
	s_cbranch_execz .LBB2_244
; %bb.230:                              ;   in Loop: Header=BB2_49 Depth=1
	s_and_saveexec_b64 s[62:63], s[12:13]
	s_cbranch_execz .LBB2_243
; %bb.231:                              ;   in Loop: Header=BB2_49 Depth=1
	s_mov_b64 s[74:75], exec
	v_mbcnt_lo_u32_b32 v3, s74, 0
	v_mbcnt_hi_u32_b32 v3, s75, v3
	v_cmp_eq_u32_e32 vcc, 0, v3
	s_waitcnt vmcnt(0) lgkmcnt(0)
	buffer_wbinvl1_vol
	s_and_saveexec_b64 s[72:73], vcc
	s_cbranch_execz .LBB2_233
; %bb.232:                              ;   in Loop: Header=BB2_49 Depth=1
	s_bcnt1_i32_b64 s74, s[74:75]
	v_mov_b32_e32 v10, s74
	v_mov_b32_e32 v11, v36
	ds_add_u64 v0, v[10:11]
	s_trap 2
.LBB2_233:                              ;   in Loop: Header=BB2_49 Depth=1
	s_or_b64 exec, exec, s[72:73]
	s_trap 2
	ds_read_b64 v[10:11], v0
	s_waitcnt lgkmcnt(0)
	v_add_co_u32_e32 v26, vcc, v26, v46
	v_addc_co_u32_e32 v27, vcc, 0, v27, vcc
	v_cmp_lt_u64_e32 vcc, v[10:11], v[26:27]
	s_and_saveexec_b64 s[72:73], vcc
	s_cbranch_execz .LBB2_242
; %bb.234:                              ;   in Loop: Header=BB2_49 Depth=1
	s_mov_b32 s94, 0
	s_mov_b64 s[74:75], 0
                                        ; implicit-def: $sgpr76_sgpr77
                                        ; implicit-def: $sgpr78_sgpr79
	s_branch .LBB2_236
.LBB2_235:                              ;   in Loop: Header=BB2_236 Depth=2
	s_or_b64 exec, exec, s[90:91]
	s_and_b64 s[88:89], exec, s[92:93]
	s_or_b64 s[74:75], s[88:89], s[74:75]
	s_andn2_b64 s[76:77], s[76:77], exec
	s_and_b64 s[88:89], s[78:79], exec
	s_or_b64 s[76:77], s[76:77], s[88:89]
	s_andn2_b64 exec, exec, s[74:75]
	s_cbranch_execz .LBB2_240
.LBB2_236:                              ;   Parent Loop BB2_49 Depth=1
                                        ; =>  This Inner Loop Header: Depth=2
	s_add_i32 s94, s94, 1
	s_cmpk_lg_i32 s94, 0x2710
	s_cselect_b64 s[88:89], -1, 0
	s_and_b64 vcc, exec, s[88:89]
	s_cbranch_vccz .LBB2_238
; %bb.237:                              ;   in Loop: Header=BB2_236 Depth=2
	s_mov_b64 s[92:93], -1
	s_or_b64 s[78:79], s[78:79], exec
	s_and_saveexec_b64 s[90:91], s[88:89]
	s_cbranch_execz .LBB2_235
	s_branch .LBB2_239
.LBB2_238:                              ;   in Loop: Header=BB2_236 Depth=2
	s_trap 2
	ds_read_b64 v[10:11], v0
	s_andn2_b64 s[88:89], s[88:89], exec
	s_mov_b32 s94, 0
	s_waitcnt lgkmcnt(0)
	flat_load_dword v3, v[10:11] glc
	s_waitcnt vmcnt(0) lgkmcnt(0)
	buffer_wbinvl1_vol
	v_cmp_eq_u32_e32 vcc, 0, v3
	s_and_b64 s[90:91], vcc, exec
	s_or_b64 s[88:89], s[88:89], s[90:91]
	s_mov_b64 s[92:93], -1
	s_or_b64 s[78:79], s[78:79], exec
	s_and_saveexec_b64 s[90:91], s[88:89]
	s_cbranch_execz .LBB2_235
.LBB2_239:                              ;   in Loop: Header=BB2_236 Depth=2
	s_sleep 1
	s_trap 2
	ds_read_b64 v[10:11], v0
	s_waitcnt lgkmcnt(0)
	s_andn2_b64 s[78:79], s[78:79], exec
	v_cmp_ge_u64_e32 vcc, v[10:11], v[26:27]
	s_orn2_b64 s[92:93], vcc, exec
	s_branch .LBB2_235
.LBB2_240:                              ;   in Loop: Header=BB2_49 Depth=1
	s_or_b64 exec, exec, s[74:75]
	s_and_saveexec_b64 s[74:75], s[76:77]
	s_xor_b64 s[74:75], exec, s[74:75]
	s_cbranch_execz .LBB2_242
; %bb.241:                              ;   in Loop: Header=BB2_49 Depth=1
	ds_write_b32 v0, v53
	s_trap 2
.LBB2_242:                              ;   in Loop: Header=BB2_49 Depth=1
	s_or_b64 exec, exec, s[72:73]
	;;#ASMSTART
	s_wakeup
	;;#ASMEND
.LBB2_243:                              ;   in Loop: Header=BB2_49 Depth=1
	s_or_b64 exec, exec, s[62:63]
.LBB2_244:                              ;   in Loop: Header=BB2_49 Depth=1
	s_andn2_saveexec_b64 s[60:61], s[60:61]
	s_cbranch_execz .LBB2_246
; %bb.245:                              ;   in Loop: Header=BB2_49 Depth=1
	s_waitcnt vmcnt(0) lgkmcnt(0)
	buffer_wbinvl1_vol
	s_barrier
.LBB2_246:                              ;   in Loop: Header=BB2_49 Depth=1
	s_or_b64 exec, exec, s[60:61]
.LBB2_247:                              ;   in Loop: Header=BB2_49 Depth=1
	s_or_b64 exec, exec, s[58:59]
	v_and_b32_e32 v3, 16, v44
	v_cmp_ne_u32_e32 vcc, 0, v3
	s_and_b64 s[58:59], vcc, s[20:21]
	s_and_saveexec_b64 s[20:21], s[58:59]
	s_cbranch_execz .LBB2_249
; %bb.248:                              ;   in Loop: Header=BB2_49 Depth=1
	s_waitcnt vmcnt(0) lgkmcnt(0)
	buffer_wbinvl1_vol
.LBB2_249:                              ;   in Loop: Header=BB2_49 Depth=1
	s_or_b64 exec, exec, s[20:21]
	v_cmp_ne_u32_e32 vcc, 0, v3
	s_xor_b64 s[20:21], s[18:19], -1
	s_and_b64 s[58:59], vcc, s[20:21]
	s_and_saveexec_b64 s[20:21], s[58:59]
	s_cbranch_execz .LBB2_251
; %bb.250:                              ;   in Loop: Header=BB2_49 Depth=1
	flat_store_dword v[34:35], v53
.LBB2_251:                              ;   in Loop: Header=BB2_49 Depth=1
	s_or_b64 exec, exec, s[20:21]
	v_and_b32_e32 v3, 48, v44
	v_cmp_ne_u32_e32 vcc, 0, v3
	s_and_saveexec_b64 s[20:21], vcc
	s_cbranch_execz .LBB2_253
; %bb.252:                              ;   in Loop: Header=BB2_49 Depth=1
	v_add_co_u32_e32 v8, vcc, 1, v8
	v_addc_co_u32_e32 v9, vcc, 0, v9, vcc
	flat_store_dwordx2 v[22:23], v[8:9]
.LBB2_253:                              ;   in Loop: Header=BB2_49 Depth=1
	s_or_b64 exec, exec, s[20:21]
	v_mov_b32_e32 v3, v2
.LBB2_254:                              ;   in Loop: Header=BB2_49 Depth=1
	s_or_b64 exec, exec, s[56:57]
	s_and_saveexec_b64 s[56:57], s[46:47]
	s_cbranch_execz .LBB2_48
; %bb.255:                              ;   in Loop: Header=BB2_49 Depth=1
	v_sub_u32_e32 v3, v48, v3
	v_min_i32_e32 v10, v2, v3
	v_and_b32_e32 v2, 12, v44
	v_cmp_ne_u32_e32 vcc, 0, v2
	s_and_saveexec_b64 s[46:47], vcc
	s_cbranch_execz .LBB2_281
; %bb.256:                              ;   in Loop: Header=BB2_49 Depth=1
	v_and_b32_e32 v2, 8, v44
	s_waitcnt vmcnt(0)
	v_add_co_u32_e32 v14, vcc, v28, v2
	v_addc_co_u32_e32 v15, vcc, 0, v29, vcc
	v_add_co_u32_e32 v12, vcc, 1, v8
	v_addc_co_u32_e32 v13, vcc, 0, v9, vcc
	v_cmp_lt_u64_e32 vcc, v[14:15], v[12:13]
	s_and_saveexec_b64 s[58:59], vcc
	s_cbranch_execz .LBB2_268
; %bb.257:                              ;   in Loop: Header=BB2_49 Depth=1
	v_and_b32_e32 v3, 64, v44
	s_mov_b32 s94, 0
	v_cmp_eq_u32_e32 vcc, 0, v3
	s_mov_b64 s[60:61], 0
                                        ; implicit-def: $sgpr62_sgpr63
                                        ; implicit-def: $sgpr72_sgpr73
                                        ; implicit-def: $sgpr74_sgpr75
	s_branch .LBB2_261
.LBB2_258:                              ;   in Loop: Header=BB2_261 Depth=2
	s_waitcnt vmcnt(0) lgkmcnt(0)
	v_add_co_u32_e64 v14, s[20:21], v28, v2
	v_addc_co_u32_e64 v15, s[20:21], 0, v29, s[20:21]
	v_cmp_ge_u64_e64 s[20:21], v[14:15], v[12:13]
	s_or_b64 s[88:89], s[88:89], exec
	s_orn2_b64 s[78:79], s[20:21], exec
.LBB2_259:                              ;   in Loop: Header=BB2_261 Depth=2
	s_or_b64 exec, exec, s[92:93]
	s_andn2_b64 s[20:21], s[74:75], exec
	s_and_b64 s[74:75], s[88:89], exec
	s_or_b64 s[74:75], s[20:21], s[74:75]
	s_andn2_b64 s[20:21], s[72:73], exec
	s_and_b64 s[72:73], s[78:79], exec
	s_or_b64 s[72:73], s[20:21], s[72:73]
.LBB2_260:                              ;   in Loop: Header=BB2_261 Depth=2
	s_or_b64 exec, exec, s[76:77]
	s_and_b64 s[20:21], exec, s[72:73]
	s_or_b64 s[60:61], s[20:21], s[60:61]
	s_andn2_b64 s[20:21], s[62:63], exec
	s_and_b64 s[62:63], s[74:75], exec
	s_or_b64 s[62:63], s[20:21], s[62:63]
	s_andn2_b64 exec, exec, s[60:61]
	s_cbranch_execz .LBB2_265
.LBB2_261:                              ;   Parent Loop BB2_49 Depth=1
                                        ; =>  This Inner Loop Header: Depth=2
	s_sleep 1
	s_waitcnt vmcnt(0) lgkmcnt(0)
	flat_load_dwordx2 v[28:29], v[22:23] glc
	s_or_b64 s[74:75], s[74:75], exec
	s_or_b64 s[72:73], s[72:73], exec
                                        ; implicit-def: $vgpr3
	s_and_saveexec_b64 s[76:77], vcc
	s_cbranch_execz .LBB2_260
; %bb.262:                              ;   in Loop: Header=BB2_261 Depth=2
	s_cmpk_lt_i32 s94, 0x270f
	s_cselect_b64 s[90:91], -1, 0
	s_cmpk_gt_i32 s94, 0x270e
	s_mov_b64 s[78:79], -1
	s_cbranch_scc0 .LBB2_264
; %bb.263:                              ;   in Loop: Header=BB2_261 Depth=2
	s_trap 2
	ds_read_b64 v[14:15], v0
	s_andn2_b64 s[90:91], s[90:91], exec
	s_mov_b32 s94, 0
	s_mov_b64 s[88:89], 0
	s_waitcnt vmcnt(0) lgkmcnt(0)
	flat_load_dword v3, v[14:15] glc
	s_waitcnt vmcnt(0) lgkmcnt(0)
	buffer_wbinvl1_vol
	v_cmp_eq_u32_e64 s[20:21], 0, v3
	s_and_b64 s[20:21], s[20:21], exec
	s_or_b64 s[90:91], s[90:91], s[20:21]
	s_and_saveexec_b64 s[92:93], s[90:91]
	s_cbranch_execz .LBB2_259
	s_branch .LBB2_258
.LBB2_264:                              ;   in Loop: Header=BB2_261 Depth=2
	s_add_i32 s94, s94, 1
	s_mov_b64 s[88:89], -1
                                        ; implicit-def: $vgpr3
	s_and_saveexec_b64 s[92:93], s[90:91]
	s_cbranch_execz .LBB2_259
	s_branch .LBB2_258
.LBB2_265:                              ;   in Loop: Header=BB2_49 Depth=1
	s_or_b64 exec, exec, s[60:61]
	s_xor_b64 s[20:21], s[62:63], -1
	s_and_saveexec_b64 s[60:61], s[20:21]
	s_xor_b64 s[20:21], exec, s[60:61]
	s_cbranch_execz .LBB2_267
; %bb.266:                              ;   in Loop: Header=BB2_49 Depth=1
	v_or_b32_e32 v44, 64, v44
	s_waitcnt lgkmcnt(0)
	ds_write_b32 v0, v3
	s_trap 2
.LBB2_267:                              ;   in Loop: Header=BB2_49 Depth=1
	s_or_b64 exec, exec, s[20:21]
.LBB2_268:                              ;   in Loop: Header=BB2_49 Depth=1
	s_or_b64 exec, exec, s[58:59]
	v_and_b32_e32 v3, 0x108, v44
	v_cmp_ne_u32_e32 vcc, s34, v3
	v_and_b32_e32 v3, 7, v8
	;;#ASMSTART
	s_wakeup
	;;#ASMEND
	s_and_saveexec_b64 s[20:21], vcc
	s_xor_b64 s[20:21], exec, s[20:21]
                                        ; implicit-def: $vgpr11
; %bb.269:                              ;   in Loop: Header=BB2_49 Depth=1
	v_mov_b32_e32 v11, v36
; %bb.270:                              ;   in Loop: Header=BB2_49 Depth=1
	s_andn2_saveexec_b64 s[20:21], s[20:21]
	s_cbranch_execz .LBB2_272
; %bb.271:                              ;   in Loop: Header=BB2_49 Depth=1
	v_mad_u64_u32 v[8:9], s[58:59], v3, 24, v[6:7]
	v_ashrrev_i32_e32 v11, 31, v10
	v_lshlrev_b64 v[14:15], 1, v[10:11]
	v_mov_b32_e32 v11, v36
	flat_store_dwordx2 v[8:9], v[14:15] offset:8
.LBB2_272:                              ;   in Loop: Header=BB2_49 Depth=1
	s_or_b64 exec, exec, s[20:21]
	v_and_b32_e32 v8, 0x100, v44
	v_cmp_ne_u32_e32 vcc, 0, v8
	s_mov_b64 s[20:21], -1
                                        ; implicit-def: $vgpr8_vgpr9
	s_and_saveexec_b64 s[58:59], vcc
	s_cbranch_execz .LBB2_276
; %bb.273:                              ;   in Loop: Header=BB2_49 Depth=1
	v_mad_u64_u32 v[14:15], s[20:21], v3, 24, v[6:7]
	v_mov_b32_e32 v8, v15
	v_mad_u64_u32 v[8:9], s[20:21], v11, 24, v[8:9]
	v_mov_b32_e32 v15, v8
	flat_load_dword v8, v[14:15]
	s_waitcnt vmcnt(0) lgkmcnt(0)
	v_cmp_ne_u32_e32 vcc, 1, v8
	v_cmp_eq_u32_e64 s[20:21], 1, v8
                                        ; implicit-def: $vgpr8_vgpr9
	s_and_saveexec_b64 s[60:61], s[20:21]
	s_cbranch_execz .LBB2_275
; %bb.274:                              ;   in Loop: Header=BB2_49 Depth=1
	flat_load_dword v8, v[14:15] offset:4 glc
	s_waitcnt vmcnt(0) lgkmcnt(0)
	v_ashrrev_i32_e32 v9, 31, v8
	v_lshrrev_b64 v[8:9], 1, v[8:9]
.LBB2_275:                              ;   in Loop: Header=BB2_49 Depth=1
	s_or_b64 exec, exec, s[60:61]
	s_orn2_b64 s[20:21], vcc, exec
.LBB2_276:                              ;   in Loop: Header=BB2_49 Depth=1
	s_or_b64 exec, exec, s[58:59]
	s_and_saveexec_b64 s[58:59], s[20:21]
	s_cbranch_execz .LBB2_278
; %bb.277:                              ;   in Loop: Header=BB2_49 Depth=1
	v_mul_lo_u32 v11, v11, v45
	v_mul_lo_u32 v14, v3, v62
	v_mad_u64_u32 v[8:9], s[20:21], v3, v45, 0
	v_add3_u32 v9, v9, v14, v11
.LBB2_278:                              ;   in Loop: Header=BB2_49 Depth=1
	s_or_b64 exec, exec, s[58:59]
	v_cmp_eq_u32_e32 vcc, 0, v2
	v_lshlrev_b64 v[2:3], 1, v[8:9]
	v_cndmask_b32_e32 v11, v16, v17, vcc
	v_add_co_u32_e32 v2, vcc, v24, v2
	v_addc_co_u32_e32 v3, vcc, v25, v3, vcc
	v_add_u32_e32 v8, v0, v11
	ds_write_b64 v8, v[2:3] offset:584
	v_and_b32_e32 v2, 0x2000, v44
	v_cmp_ne_u32_e32 vcc, 0, v2
	s_and_saveexec_b64 s[20:21], vcc
	s_cbranch_execz .LBB2_280
; %bb.279:                              ;   in Loop: Header=BB2_49 Depth=1
	ds_read_b64 v[2:3], v0 offset:872
	s_waitcnt lgkmcnt(0)
	v_add_co_u32_e32 v2, vcc, 1, v2
	v_addc_co_u32_e32 v3, vcc, 0, v3, vcc
	ds_write_b64 v0, v[2:3] offset:872
.LBB2_280:                              ;   in Loop: Header=BB2_49 Depth=1
	s_or_b64 exec, exec, s[20:21]
	v_mov_b32_e32 v8, v12
	v_mov_b32_e32 v9, v13
.LBB2_281:                              ;   in Loop: Header=BB2_49 Depth=1
	s_or_b64 exec, exec, s[46:47]
	s_and_saveexec_b64 s[20:21], s[10:11]
	s_cbranch_execz .LBB2_300
; %bb.282:                              ;   in Loop: Header=BB2_49 Depth=1
	s_and_saveexec_b64 s[46:47], s[40:41]
	s_xor_b64 s[46:47], exec, s[46:47]
	s_cbranch_execz .LBB2_297
; %bb.283:                              ;   in Loop: Header=BB2_49 Depth=1
	s_and_saveexec_b64 s[58:59], s[12:13]
	s_cbranch_execz .LBB2_296
; %bb.284:                              ;   in Loop: Header=BB2_49 Depth=1
	s_mov_b64 s[62:63], exec
	v_mbcnt_lo_u32_b32 v2, s62, 0
	v_mbcnt_hi_u32_b32 v2, s63, v2
	v_cmp_eq_u32_e32 vcc, 0, v2
	s_waitcnt vmcnt(0) lgkmcnt(0)
	buffer_wbinvl1_vol
	s_and_saveexec_b64 s[60:61], vcc
	s_cbranch_execz .LBB2_286
; %bb.285:                              ;   in Loop: Header=BB2_49 Depth=1
	s_bcnt1_i32_b64 s62, s[62:63]
	v_mov_b32_e32 v2, s62
	v_mov_b32_e32 v3, v36
	ds_add_u64 v0, v[2:3]
	s_trap 2
.LBB2_286:                              ;   in Loop: Header=BB2_49 Depth=1
	s_or_b64 exec, exec, s[60:61]
	s_trap 2
	ds_read_b64 v[2:3], v0
	s_waitcnt lgkmcnt(0)
	v_add_co_u32_e32 v26, vcc, v26, v46
	v_addc_co_u32_e32 v27, vcc, 0, v27, vcc
	v_cmp_lt_u64_e32 vcc, v[2:3], v[26:27]
	s_and_saveexec_b64 s[60:61], vcc
	s_cbranch_execz .LBB2_295
; %bb.287:                              ;   in Loop: Header=BB2_49 Depth=1
	s_mov_b32 s90, 0
	s_mov_b64 s[62:63], 0
                                        ; implicit-def: $sgpr72_sgpr73
                                        ; implicit-def: $sgpr74_sgpr75
	s_branch .LBB2_289
.LBB2_288:                              ;   in Loop: Header=BB2_289 Depth=2
	s_or_b64 exec, exec, s[78:79]
	s_and_b64 s[76:77], exec, s[88:89]
	s_or_b64 s[62:63], s[76:77], s[62:63]
	s_andn2_b64 s[72:73], s[72:73], exec
	s_and_b64 s[76:77], s[74:75], exec
	s_or_b64 s[72:73], s[72:73], s[76:77]
	s_andn2_b64 exec, exec, s[62:63]
	s_cbranch_execz .LBB2_293
.LBB2_289:                              ;   Parent Loop BB2_49 Depth=1
                                        ; =>  This Inner Loop Header: Depth=2
	s_add_i32 s90, s90, 1
	s_cmpk_lg_i32 s90, 0x2710
	s_cselect_b64 s[76:77], -1, 0
	s_and_b64 vcc, exec, s[76:77]
	s_cbranch_vccz .LBB2_291
; %bb.290:                              ;   in Loop: Header=BB2_289 Depth=2
	s_mov_b64 s[88:89], -1
	s_or_b64 s[74:75], s[74:75], exec
	s_and_saveexec_b64 s[78:79], s[76:77]
	s_cbranch_execz .LBB2_288
	s_branch .LBB2_292
.LBB2_291:                              ;   in Loop: Header=BB2_289 Depth=2
	s_trap 2
	ds_read_b64 v[2:3], v0
	s_andn2_b64 s[76:77], s[76:77], exec
	s_mov_b32 s90, 0
	s_waitcnt lgkmcnt(0)
	flat_load_dword v2, v[2:3] glc
	s_waitcnt vmcnt(0) lgkmcnt(0)
	buffer_wbinvl1_vol
	v_cmp_eq_u32_e32 vcc, 0, v2
	s_and_b64 s[78:79], vcc, exec
	s_or_b64 s[76:77], s[76:77], s[78:79]
	s_mov_b64 s[88:89], -1
	s_or_b64 s[74:75], s[74:75], exec
	s_and_saveexec_b64 s[78:79], s[76:77]
	s_cbranch_execz .LBB2_288
.LBB2_292:                              ;   in Loop: Header=BB2_289 Depth=2
	s_sleep 1
	s_trap 2
	ds_read_b64 v[2:3], v0
	s_waitcnt lgkmcnt(0)
	s_andn2_b64 s[74:75], s[74:75], exec
	v_cmp_ge_u64_e32 vcc, v[2:3], v[26:27]
	s_orn2_b64 s[88:89], vcc, exec
	s_branch .LBB2_288
.LBB2_293:                              ;   in Loop: Header=BB2_49 Depth=1
	s_or_b64 exec, exec, s[62:63]
	s_and_saveexec_b64 s[62:63], s[72:73]
	s_xor_b64 s[62:63], exec, s[62:63]
	s_cbranch_execz .LBB2_295
; %bb.294:                              ;   in Loop: Header=BB2_49 Depth=1
	ds_write_b32 v0, v53
	s_trap 2
.LBB2_295:                              ;   in Loop: Header=BB2_49 Depth=1
	s_or_b64 exec, exec, s[60:61]
	;;#ASMSTART
	s_wakeup
	;;#ASMEND
.LBB2_296:                              ;   in Loop: Header=BB2_49 Depth=1
	s_or_b64 exec, exec, s[58:59]
.LBB2_297:                              ;   in Loop: Header=BB2_49 Depth=1
	s_andn2_saveexec_b64 s[46:47], s[46:47]
	s_cbranch_execz .LBB2_299
; %bb.298:                              ;   in Loop: Header=BB2_49 Depth=1
	s_waitcnt vmcnt(0) lgkmcnt(0)
	buffer_wbinvl1_vol
	s_barrier
.LBB2_299:                              ;   in Loop: Header=BB2_49 Depth=1
	s_or_b64 exec, exec, s[46:47]
.LBB2_300:                              ;   in Loop: Header=BB2_49 Depth=1
	s_or_b64 exec, exec, s[20:21]
	s_trap 2
	ds_read_b32 v3, v0
	v_cmp_lt_i32_e32 vcc, 0, v10
	v_and_b32_e32 v2, 16, v44
	s_waitcnt lgkmcnt(0)
	v_readfirstlane_b32 s20, v3
	s_cmp_eq_u32 s20, 0
	s_cselect_b64 s[20:21], -1, 0
	s_and_b64 s[20:21], vcc, s[20:21]
	v_cmp_ne_u32_e32 vcc, 0, v2
	s_and_b64 s[46:47], vcc, s[20:21]
	s_and_saveexec_b64 s[20:21], s[46:47]
	s_cbranch_execz .LBB2_302
; %bb.301:                              ;   in Loop: Header=BB2_49 Depth=1
	s_waitcnt vmcnt(0)
	buffer_wbinvl1_vol
.LBB2_302:                              ;   in Loop: Header=BB2_49 Depth=1
	s_or_b64 exec, exec, s[20:21]
	v_cmp_ne_u32_e32 vcc, 0, v2
	s_xor_b64 s[20:21], s[18:19], -1
	s_and_b64 s[46:47], vcc, s[20:21]
	s_and_saveexec_b64 s[20:21], s[46:47]
	s_cbranch_execz .LBB2_304
; %bb.303:                              ;   in Loop: Header=BB2_49 Depth=1
	flat_store_dword v[34:35], v53
.LBB2_304:                              ;   in Loop: Header=BB2_49 Depth=1
	s_or_b64 exec, exec, s[20:21]
	v_and_b32_e32 v2, 48, v44
	v_cmp_ne_u32_e32 vcc, 0, v2
	s_and_saveexec_b64 s[20:21], vcc
	s_cbranch_execz .LBB2_47
; %bb.305:                              ;   in Loop: Header=BB2_49 Depth=1
	v_add_co_u32_e32 v8, vcc, 1, v8
	v_addc_co_u32_e32 v9, vcc, 0, v9, vcc
	flat_store_dwordx2 v[22:23], v[8:9]
	s_branch .LBB2_47
.LBB2_306:
	s_or_b64 exec, exec, s[42:43]
	buffer_load_dword v31, off, s[0:3], s33 offset:60 ; 4-byte Folded Reload
	buffer_load_dword v30, off, s[0:3], s33 offset:64 ; 4-byte Folded Reload
.LBB2_307:
	s_or_b64 exec, exec, s[28:29]
                                        ; implicit-def: $vgpr18_vgpr19
                                        ; implicit-def: $vgpr4_vgpr5
                                        ; implicit-def: $vgpr45
                                        ; implicit-def: $vgpr28_vgpr29
                                        ; implicit-def: $vgpr24_vgpr25
                                        ; implicit-def: $vgpr22_vgpr23
                                        ; implicit-def: $vgpr0
                                        ; implicit-def: $vgpr38
                                        ; implicit-def: $vgpr32
.LBB2_308:
	s_andn2_saveexec_b64 s[20:21], s[26:27]
	s_cbranch_execz .LBB2_560
; %bb.309:
	v_mov_b32_e32 v26, 0
	v_cmp_ne_u64_e32 vcc, 0, v[4:5]
	v_mov_b32_e32 v27, 0
	s_and_saveexec_b64 s[26:27], vcc
	s_cbranch_execz .LBB2_559
; %bb.310:
	s_waitcnt vmcnt(0)
	v_and_b32_e32 v2, 63, v31
	v_cmp_eq_u32_e64 s[12:13], 0, v2
	v_ashrrev_i32_e32 v2, 31, v0
	v_lshrrev_b32_e32 v2, 26, v2
	v_add_u32_e32 v2, v0, v2
	v_and_b32_e32 v3, 0xffffffc0, v2
	v_ashrrev_i32_e32 v2, 6, v2
	s_lshr_b32 s6, s30, 27
	v_sub_u32_e32 v2, 0, v2
	s_add_i32 s6, s30, s6
	s_trap 2
	v_cmp_eq_u32_e32 vcc, 64, v1
	v_lshrrev_b32_e32 v41, 6, v1
	v_sub_u32_e32 v42, v0, v3
	buffer_store_dword v2, off, s[0:3], s33 offset:76 ; 4-byte Folded Spill
	v_lshlrev_b32_e32 v2, 1, v1
	v_mov_b32_e32 v36, 0
	v_mov_b32_e32 v26, 0
	s_ashr_i32 s94, s6, 5
	v_cmp_ge_i32_e64 s[6:7], v0, v1
	v_cmp_ne_u32_e64 s[10:11], 64, v1
	v_cmp_ne_u32_sdwa s[28:29], v1, v30 src0_sel:DWORD src1_sel:WORD_0
	s_waitcnt lgkmcnt(0)
	v_mov_b32_e32 v35, 0
	v_cmp_le_i32_e64 s[14:15], v42, v38
	v_cmp_gt_i32_e64 s[16:17], 1, v42
	v_lshlrev_b32_e32 v46, 4, v0
	v_lshlrev_b32_e32 v56, 10, v41
	;; [unrolled: 1-line block ×3, first 2 shown]
	v_and_b32_e32 v58, 0x7f80, v2
	s_mov_b64 s[40:41], 0
	v_mov_b32_e32 v37, 0
	v_mov_b32_e32 v27, 0
	s_xor_b64 s[42:43], vcc, -1
	s_mov_b32 s95, 0x7f800000
	s_movk_i32 s31, 0x7fff
	s_mov_b32 s34, 0xffff0000
	buffer_store_dword v30, off, s[0:3], s33 offset:64 ; 4-byte Folded Spill
	buffer_store_dword v31, off, s[0:3], s33 offset:60 ; 4-byte Folded Spill
	s_branch .LBB2_313
.LBB2_311:                              ;   in Loop: Header=BB2_313 Depth=1
	s_or_b64 exec, exec, s[18:19]
.LBB2_312:                              ;   in Loop: Header=BB2_313 Depth=1
	s_or_b64 exec, exec, s[46:47]
	v_add_co_u32_e32 v36, vcc, v36, v32
	v_addc_co_u32_e32 v37, vcc, 0, v37, vcc
	v_cmp_ge_u64_e32 vcc, v[36:37], v[4:5]
	s_or_b64 s[40:41], vcc, s[40:41]
	s_andn2_b64 exec, exec, s[40:41]
	s_cbranch_execz .LBB2_558
.LBB2_313:                              ; =>This Loop Header: Depth=1
                                        ;     Child Loop BB2_322 Depth 2
                                        ;     Child Loop BB2_346 Depth 2
	;; [unrolled: 1-line block ×10, first 2 shown]
	v_sub_co_u32_e32 v2, vcc, v4, v36
	v_subb_co_u32_e32 v3, vcc, v5, v37, vcc
	v_cmp_lt_u64_e32 vcc, v[32:33], v[2:3]
	v_cndmask_b32_e64 v39, v3, 0, vcc
	v_cndmask_b32_e32 v38, v2, v32, vcc
	v_cmp_eq_u64_e32 vcc, 0, v[38:39]
	v_add_u32_e32 v2, 15, v38
	v_and_b32_e32 v2, 0x3ffffff0, v2
	s_or_b64 s[44:45], s[6:7], vcc
	v_max_i32_e32 v60, s94, v2
	s_xor_b64 s[18:19], s[44:45], -1
	v_mov_b32_e32 v2, 0
	s_and_saveexec_b64 s[46:47], s[18:19]
	s_cbranch_execz .LBB2_512
; %bb.314:                              ;   in Loop: Header=BB2_313 Depth=1
	s_and_saveexec_b64 s[18:19], s[4:5]
	s_cbranch_execz .LBB2_316
; %bb.315:                              ;   in Loop: Header=BB2_313 Depth=1
	s_trap 2
	ds_read2_b64 v[10:13], v0 offset1:1
	ds_read_b64 v[14:15], v0
	v_add_co_u32_e32 v2, vcc, v36, v18
	v_addc_co_u32_e32 v3, vcc, v37, v19, vcc
	v_lshlrev_b64 v[2:3], 1, v[2:3]
	s_waitcnt lgkmcnt(0)
	v_add_co_u32_e32 v10, vcc, v10, v2
	v_addc_co_u32_e32 v11, vcc, v11, v3, vcc
	ds_write_b64 v0, v[10:11]
	v_add_co_u32_e32 v10, vcc, v12, v2
	v_addc_co_u32_e32 v11, vcc, v13, v3, vcc
	s_waitcnt lgkmcnt(1)
	v_add_co_u32_e32 v2, vcc, v14, v2
	v_addc_co_u32_e32 v3, vcc, v15, v3, vcc
	v_cmp_ne_u64_e32 vcc, 0, v[14:15]
	ds_write_b64 v0, v[10:11]
	v_cndmask_b32_e32 v3, 0, v3, vcc
	v_cndmask_b32_e32 v2, 0, v2, vcc
	ds_write_b64 v0, v[2:3]
.LBB2_316:                              ;   in Loop: Header=BB2_313 Depth=1
	s_or_b64 exec, exec, s[18:19]
	v_and_b32_e32 v2, 4, v44
	v_cmp_ne_u32_e32 vcc, 0, v2
	s_and_saveexec_b64 s[56:57], vcc
	s_cbranch_execz .LBB2_338
; %bb.317:                              ;   in Loop: Header=BB2_313 Depth=1
	v_add_co_u32_e32 v10, vcc, 1, v8
	v_addc_co_u32_e32 v11, vcc, 0, v9, vcc
	s_waitcnt vmcnt(0)
	v_cmp_lt_u64_e32 vcc, v[28:29], v[10:11]
	s_and_saveexec_b64 s[58:59], vcc
	s_cbranch_execz .LBB2_329
; %bb.318:                              ;   in Loop: Header=BB2_313 Depth=1
	v_and_b32_e32 v2, 64, v44
	s_mov_b32 s35, 0
	v_cmp_eq_u32_e32 vcc, 0, v2
	s_mov_b64 s[60:61], 0
                                        ; implicit-def: $sgpr62_sgpr63
                                        ; implicit-def: $sgpr72_sgpr73
                                        ; implicit-def: $sgpr74_sgpr75
	s_branch .LBB2_322
.LBB2_319:                              ;   in Loop: Header=BB2_322 Depth=2
	s_waitcnt vmcnt(0) lgkmcnt(0)
	v_cmp_ge_u64_e64 s[18:19], v[28:29], v[10:11]
	s_or_b64 s[88:89], s[88:89], exec
	s_orn2_b64 s[78:79], s[18:19], exec
.LBB2_320:                              ;   in Loop: Header=BB2_322 Depth=2
	s_or_b64 exec, exec, s[92:93]
	s_andn2_b64 s[18:19], s[74:75], exec
	s_and_b64 s[74:75], s[88:89], exec
	s_or_b64 s[74:75], s[18:19], s[74:75]
	s_andn2_b64 s[18:19], s[72:73], exec
	s_and_b64 s[72:73], s[78:79], exec
	s_or_b64 s[72:73], s[18:19], s[72:73]
.LBB2_321:                              ;   in Loop: Header=BB2_322 Depth=2
	s_or_b64 exec, exec, s[76:77]
	s_and_b64 s[18:19], exec, s[72:73]
	s_or_b64 s[60:61], s[18:19], s[60:61]
	s_andn2_b64 s[18:19], s[62:63], exec
	s_and_b64 s[62:63], s[74:75], exec
	s_or_b64 s[62:63], s[18:19], s[62:63]
	s_andn2_b64 exec, exec, s[60:61]
	s_cbranch_execz .LBB2_326
.LBB2_322:                              ;   Parent Loop BB2_313 Depth=1
                                        ; =>  This Inner Loop Header: Depth=2
	s_sleep 1
	s_waitcnt vmcnt(0) lgkmcnt(0)
	flat_load_dwordx2 v[28:29], v[22:23] glc
	s_or_b64 s[74:75], s[74:75], exec
	s_or_b64 s[72:73], s[72:73], exec
                                        ; implicit-def: $vgpr2
	s_and_saveexec_b64 s[76:77], vcc
	s_cbranch_execz .LBB2_321
; %bb.323:                              ;   in Loop: Header=BB2_322 Depth=2
	s_cmpk_lt_i32 s35, 0x270f
	s_cselect_b64 s[90:91], -1, 0
	s_cmpk_gt_i32 s35, 0x270e
	s_mov_b64 s[78:79], -1
	s_cbranch_scc0 .LBB2_325
; %bb.324:                              ;   in Loop: Header=BB2_322 Depth=2
	s_trap 2
	ds_read_b64 v[2:3], v0
	s_andn2_b64 s[90:91], s[90:91], exec
	s_mov_b32 s35, 0
	s_mov_b64 s[88:89], 0
	s_waitcnt vmcnt(0) lgkmcnt(0)
	flat_load_dword v2, v[2:3] glc
	s_waitcnt vmcnt(0) lgkmcnt(0)
	buffer_wbinvl1_vol
	v_cmp_eq_u32_e64 s[18:19], 0, v2
	s_and_b64 s[18:19], s[18:19], exec
	s_or_b64 s[90:91], s[90:91], s[18:19]
	s_and_saveexec_b64 s[92:93], s[90:91]
	s_cbranch_execz .LBB2_320
	s_branch .LBB2_319
.LBB2_325:                              ;   in Loop: Header=BB2_322 Depth=2
	s_add_i32 s35, s35, 1
	s_mov_b64 s[88:89], -1
                                        ; implicit-def: $vgpr2
	s_and_saveexec_b64 s[92:93], s[90:91]
	s_cbranch_execz .LBB2_320
	s_branch .LBB2_319
.LBB2_326:                              ;   in Loop: Header=BB2_313 Depth=1
	s_or_b64 exec, exec, s[60:61]
	s_xor_b64 s[18:19], s[62:63], -1
	s_and_saveexec_b64 s[60:61], s[18:19]
	s_xor_b64 s[18:19], exec, s[60:61]
	s_cbranch_execz .LBB2_328
; %bb.327:                              ;   in Loop: Header=BB2_313 Depth=1
	v_or_b32_e32 v44, 64, v44
	s_waitcnt lgkmcnt(0)
	ds_write_b32 v0, v2
	s_trap 2
.LBB2_328:                              ;   in Loop: Header=BB2_313 Depth=1
	s_or_b64 exec, exec, s[18:19]
.LBB2_329:                              ;   in Loop: Header=BB2_313 Depth=1
	s_or_b64 exec, exec, s[58:59]
	v_and_b32_e32 v2, 0x100, v44
	v_cmp_ne_u32_e32 vcc, 0, v2
	v_and_b32_e32 v2, 7, v8
	s_mov_b64 s[18:19], -1
	;;#ASMSTART
	s_wakeup
	;;#ASMEND
                                        ; implicit-def: $vgpr8_vgpr9
	s_and_saveexec_b64 s[58:59], vcc
	s_cbranch_execz .LBB2_333
; %bb.330:                              ;   in Loop: Header=BB2_313 Depth=1
	v_mad_u64_u32 v[12:13], s[18:19], v2, 24, v[6:7]
                                        ; implicit-def: $vgpr8_vgpr9
	flat_load_dword v3, v[12:13]
	s_waitcnt vmcnt(0) lgkmcnt(0)
	v_cmp_ne_u32_e32 vcc, 1, v3
	v_cmp_eq_u32_e64 s[18:19], 1, v3
	s_and_saveexec_b64 s[60:61], s[18:19]
	s_cbranch_execz .LBB2_332
; %bb.331:                              ;   in Loop: Header=BB2_313 Depth=1
	flat_load_dword v8, v[12:13] offset:4 glc
	s_waitcnt vmcnt(0) lgkmcnt(0)
	v_ashrrev_i32_e32 v9, 31, v8
	v_lshrrev_b64 v[8:9], 1, v[8:9]
.LBB2_332:                              ;   in Loop: Header=BB2_313 Depth=1
	s_or_b64 exec, exec, s[60:61]
	s_orn2_b64 s[18:19], vcc, exec
.LBB2_333:                              ;   in Loop: Header=BB2_313 Depth=1
	s_or_b64 exec, exec, s[58:59]
	s_and_saveexec_b64 s[58:59], s[18:19]
; %bb.334:                              ;   in Loop: Header=BB2_313 Depth=1
	v_mad_i64_i32 v[8:9], s[18:19], v2, v45, 0
; %bb.335:                              ;   in Loop: Header=BB2_313 Depth=1
	s_or_b64 exec, exec, s[58:59]
	v_lshlrev_b64 v[2:3], 1, v[8:9]
	v_add_co_u32_e32 v2, vcc, v24, v2
	v_addc_co_u32_e32 v3, vcc, v25, v3, vcc
	ds_write_b64 v0, v[2:3] offset:728
	v_and_b32_e32 v2, 0x2000, v44
	v_cmp_ne_u32_e32 vcc, 0, v2
	s_and_saveexec_b64 s[18:19], vcc
	s_cbranch_execz .LBB2_337
; %bb.336:                              ;   in Loop: Header=BB2_313 Depth=1
	ds_read_b64 v[2:3], v0 offset:872
	s_waitcnt lgkmcnt(0)
	v_add_co_u32_e32 v2, vcc, 1, v2
	v_addc_co_u32_e32 v3, vcc, 0, v3, vcc
	ds_write_b64 v0, v[2:3] offset:872
.LBB2_337:                              ;   in Loop: Header=BB2_313 Depth=1
	s_or_b64 exec, exec, s[18:19]
	v_mov_b32_e32 v8, v10
	v_mov_b32_e32 v9, v11
.LBB2_338:                              ;   in Loop: Header=BB2_313 Depth=1
	s_or_b64 exec, exec, s[56:57]
	s_and_saveexec_b64 s[18:19], s[10:11]
	s_cbranch_execz .LBB2_357
; %bb.339:                              ;   in Loop: Header=BB2_313 Depth=1
	s_and_saveexec_b64 s[56:57], s[28:29]
	s_xor_b64 s[56:57], exec, s[56:57]
	s_cbranch_execz .LBB2_354
; %bb.340:                              ;   in Loop: Header=BB2_313 Depth=1
	s_and_saveexec_b64 s[58:59], s[12:13]
	s_cbranch_execz .LBB2_353
; %bb.341:                              ;   in Loop: Header=BB2_313 Depth=1
	s_mov_b64 s[62:63], exec
	v_mbcnt_lo_u32_b32 v2, s62, 0
	v_mbcnt_hi_u32_b32 v2, s63, v2
	v_cmp_eq_u32_e32 vcc, 0, v2
	s_waitcnt vmcnt(0) lgkmcnt(0)
	buffer_wbinvl1_vol
	s_and_saveexec_b64 s[60:61], vcc
	s_cbranch_execz .LBB2_343
; %bb.342:                              ;   in Loop: Header=BB2_313 Depth=1
	s_bcnt1_i32_b64 s62, s[62:63]
	v_mov_b32_e32 v34, s62
	ds_add_u64 v0, v[34:35]
	s_trap 2
.LBB2_343:                              ;   in Loop: Header=BB2_313 Depth=1
	s_or_b64 exec, exec, s[60:61]
	s_trap 2
	ds_read_b64 v[2:3], v0
	s_waitcnt lgkmcnt(0)
	v_add_co_u32_e32 v26, vcc, v26, v41
	v_addc_co_u32_e32 v27, vcc, 0, v27, vcc
	v_cmp_lt_u64_e32 vcc, v[2:3], v[26:27]
	s_and_saveexec_b64 s[60:61], vcc
	s_cbranch_execz .LBB2_352
; %bb.344:                              ;   in Loop: Header=BB2_313 Depth=1
	s_mov_b32 s90, 0
	s_mov_b64 s[62:63], 0
                                        ; implicit-def: $sgpr72_sgpr73
                                        ; implicit-def: $sgpr74_sgpr75
	s_branch .LBB2_346
.LBB2_345:                              ;   in Loop: Header=BB2_346 Depth=2
	s_or_b64 exec, exec, s[78:79]
	s_and_b64 s[76:77], exec, s[88:89]
	s_or_b64 s[62:63], s[76:77], s[62:63]
	s_andn2_b64 s[72:73], s[72:73], exec
	s_and_b64 s[76:77], s[74:75], exec
	s_or_b64 s[72:73], s[72:73], s[76:77]
	s_andn2_b64 exec, exec, s[62:63]
	s_cbranch_execz .LBB2_350
.LBB2_346:                              ;   Parent Loop BB2_313 Depth=1
                                        ; =>  This Inner Loop Header: Depth=2
	s_add_i32 s90, s90, 1
	s_cmpk_lg_i32 s90, 0x2710
	s_cselect_b64 s[76:77], -1, 0
	s_and_b64 vcc, exec, s[76:77]
	s_cbranch_vccz .LBB2_348
; %bb.347:                              ;   in Loop: Header=BB2_346 Depth=2
	s_mov_b64 s[88:89], -1
	s_or_b64 s[74:75], s[74:75], exec
	s_and_saveexec_b64 s[78:79], s[76:77]
	s_cbranch_execz .LBB2_345
	s_branch .LBB2_349
.LBB2_348:                              ;   in Loop: Header=BB2_346 Depth=2
	s_trap 2
	ds_read_b64 v[2:3], v0
	s_andn2_b64 s[76:77], s[76:77], exec
	s_mov_b32 s90, 0
	s_waitcnt lgkmcnt(0)
	flat_load_dword v2, v[2:3] glc
	s_waitcnt vmcnt(0) lgkmcnt(0)
	buffer_wbinvl1_vol
	v_cmp_eq_u32_e32 vcc, 0, v2
	s_and_b64 s[78:79], vcc, exec
	s_or_b64 s[76:77], s[76:77], s[78:79]
	s_mov_b64 s[88:89], -1
	s_or_b64 s[74:75], s[74:75], exec
	s_and_saveexec_b64 s[78:79], s[76:77]
	s_cbranch_execz .LBB2_345
.LBB2_349:                              ;   in Loop: Header=BB2_346 Depth=2
	s_sleep 1
	s_trap 2
	ds_read_b64 v[2:3], v0
	s_waitcnt lgkmcnt(0)
	s_andn2_b64 s[74:75], s[74:75], exec
	v_cmp_ge_u64_e32 vcc, v[2:3], v[26:27]
	s_orn2_b64 s[88:89], vcc, exec
	s_branch .LBB2_345
.LBB2_350:                              ;   in Loop: Header=BB2_313 Depth=1
	s_or_b64 exec, exec, s[62:63]
	s_and_saveexec_b64 s[62:63], s[72:73]
	s_xor_b64 s[62:63], exec, s[62:63]
	s_cbranch_execz .LBB2_352
; %bb.351:                              ;   in Loop: Header=BB2_313 Depth=1
	v_mov_b32_e32 v2, 1
	ds_write_b32 v0, v2
	s_trap 2
.LBB2_352:                              ;   in Loop: Header=BB2_313 Depth=1
	s_or_b64 exec, exec, s[60:61]
	;;#ASMSTART
	s_wakeup
	;;#ASMEND
.LBB2_353:                              ;   in Loop: Header=BB2_313 Depth=1
	s_or_b64 exec, exec, s[58:59]
.LBB2_354:                              ;   in Loop: Header=BB2_313 Depth=1
	s_andn2_saveexec_b64 s[56:57], s[56:57]
	s_cbranch_execz .LBB2_356
; %bb.355:                              ;   in Loop: Header=BB2_313 Depth=1
	s_waitcnt vmcnt(0) lgkmcnt(0)
	buffer_wbinvl1_vol
	s_barrier
.LBB2_356:                              ;   in Loop: Header=BB2_313 Depth=1
	s_or_b64 exec, exec, s[56:57]
.LBB2_357:                              ;   in Loop: Header=BB2_313 Depth=1
	s_or_b64 exec, exec, s[18:19]
	s_trap 2
	ds_read_b32 v2, v0
	v_and_b32_e32 v3, 0x4000, v44
	v_cmp_ne_u32_e32 vcc, 0, v3
	s_and_b64 s[56:57], s[42:43], vcc
	s_and_saveexec_b64 s[18:19], s[56:57]
	s_cbranch_execz .LBB2_376
; %bb.358:                              ;   in Loop: Header=BB2_313 Depth=1
	s_and_saveexec_b64 s[56:57], s[28:29]
	s_xor_b64 s[56:57], exec, s[56:57]
	s_cbranch_execz .LBB2_373
; %bb.359:                              ;   in Loop: Header=BB2_313 Depth=1
	s_and_saveexec_b64 s[58:59], s[12:13]
	s_cbranch_execz .LBB2_372
; %bb.360:                              ;   in Loop: Header=BB2_313 Depth=1
	s_mov_b64 s[62:63], exec
	v_mbcnt_lo_u32_b32 v3, s62, 0
	v_mbcnt_hi_u32_b32 v3, s63, v3
	v_cmp_eq_u32_e32 vcc, 0, v3
	s_waitcnt vmcnt(0) lgkmcnt(0)
	buffer_wbinvl1_vol
	s_and_saveexec_b64 s[60:61], vcc
	s_cbranch_execz .LBB2_362
; %bb.361:                              ;   in Loop: Header=BB2_313 Depth=1
	s_bcnt1_i32_b64 s62, s[62:63]
	v_mov_b32_e32 v34, s62
	ds_add_u64 v0, v[34:35]
	s_trap 2
.LBB2_362:                              ;   in Loop: Header=BB2_313 Depth=1
	s_or_b64 exec, exec, s[60:61]
	s_trap 2
	ds_read_b64 v[10:11], v0
	s_waitcnt lgkmcnt(0)
	v_add_co_u32_e32 v26, vcc, v26, v41
	v_addc_co_u32_e32 v27, vcc, 0, v27, vcc
	v_cmp_lt_u64_e32 vcc, v[10:11], v[26:27]
	s_and_saveexec_b64 s[60:61], vcc
	s_cbranch_execz .LBB2_371
; %bb.363:                              ;   in Loop: Header=BB2_313 Depth=1
	s_mov_b32 s90, 0
	s_mov_b64 s[62:63], 0
                                        ; implicit-def: $sgpr72_sgpr73
                                        ; implicit-def: $sgpr74_sgpr75
	s_branch .LBB2_365
.LBB2_364:                              ;   in Loop: Header=BB2_365 Depth=2
	s_or_b64 exec, exec, s[78:79]
	s_and_b64 s[76:77], exec, s[88:89]
	s_or_b64 s[62:63], s[76:77], s[62:63]
	s_andn2_b64 s[72:73], s[72:73], exec
	s_and_b64 s[76:77], s[74:75], exec
	s_or_b64 s[72:73], s[72:73], s[76:77]
	s_andn2_b64 exec, exec, s[62:63]
	s_cbranch_execz .LBB2_369
.LBB2_365:                              ;   Parent Loop BB2_313 Depth=1
                                        ; =>  This Inner Loop Header: Depth=2
	s_add_i32 s90, s90, 1
	s_cmpk_lg_i32 s90, 0x2710
	s_cselect_b64 s[76:77], -1, 0
	s_and_b64 vcc, exec, s[76:77]
	s_cbranch_vccz .LBB2_367
; %bb.366:                              ;   in Loop: Header=BB2_365 Depth=2
	s_mov_b64 s[88:89], -1
	s_or_b64 s[74:75], s[74:75], exec
	s_and_saveexec_b64 s[78:79], s[76:77]
	s_cbranch_execz .LBB2_364
	s_branch .LBB2_368
.LBB2_367:                              ;   in Loop: Header=BB2_365 Depth=2
	s_trap 2
	ds_read_b64 v[10:11], v0
	s_andn2_b64 s[76:77], s[76:77], exec
	s_mov_b32 s90, 0
	s_waitcnt lgkmcnt(0)
	flat_load_dword v3, v[10:11] glc
	s_waitcnt vmcnt(0) lgkmcnt(0)
	buffer_wbinvl1_vol
	v_cmp_eq_u32_e32 vcc, 0, v3
	s_and_b64 s[78:79], vcc, exec
	s_or_b64 s[76:77], s[76:77], s[78:79]
	s_mov_b64 s[88:89], -1
	s_or_b64 s[74:75], s[74:75], exec
	s_and_saveexec_b64 s[78:79], s[76:77]
	s_cbranch_execz .LBB2_364
.LBB2_368:                              ;   in Loop: Header=BB2_365 Depth=2
	s_sleep 1
	s_trap 2
	ds_read_b64 v[10:11], v0
	s_waitcnt lgkmcnt(0)
	s_andn2_b64 s[74:75], s[74:75], exec
	v_cmp_ge_u64_e32 vcc, v[10:11], v[26:27]
	s_orn2_b64 s[88:89], vcc, exec
	s_branch .LBB2_364
.LBB2_369:                              ;   in Loop: Header=BB2_313 Depth=1
	s_or_b64 exec, exec, s[62:63]
	s_and_saveexec_b64 s[62:63], s[72:73]
	s_xor_b64 s[62:63], exec, s[62:63]
	s_cbranch_execz .LBB2_371
; %bb.370:                              ;   in Loop: Header=BB2_313 Depth=1
	v_mov_b32_e32 v3, 1
	ds_write_b32 v0, v3
	s_trap 2
.LBB2_371:                              ;   in Loop: Header=BB2_313 Depth=1
	s_or_b64 exec, exec, s[60:61]
	;;#ASMSTART
	s_wakeup
	;;#ASMEND
.LBB2_372:                              ;   in Loop: Header=BB2_313 Depth=1
	s_or_b64 exec, exec, s[58:59]
.LBB2_373:                              ;   in Loop: Header=BB2_313 Depth=1
	s_andn2_saveexec_b64 s[56:57], s[56:57]
	s_cbranch_execz .LBB2_375
; %bb.374:                              ;   in Loop: Header=BB2_313 Depth=1
	s_waitcnt vmcnt(0) lgkmcnt(0)
	buffer_wbinvl1_vol
	s_barrier
.LBB2_375:                              ;   in Loop: Header=BB2_313 Depth=1
	s_or_b64 exec, exec, s[56:57]
.LBB2_376:                              ;   in Loop: Header=BB2_313 Depth=1
	s_or_b64 exec, exec, s[18:19]
	s_trap 2
	ds_read_b64 v[48:49], v0
	v_min_u32_e32 v60, v60, v38
	s_waitcnt lgkmcnt(0)
	v_cmp_eq_u64_e32 vcc, 0, v[48:49]
	s_cbranch_vccnz .LBB2_384
; %bb.377:                              ;   in Loop: Header=BB2_313 Depth=1
	s_trap 2
	ds_read_b64 v[50:51], v0
	s_waitcnt lgkmcnt(0)
	v_cmp_eq_u64_e32 vcc, 0, v[50:51]
	s_cbranch_vccnz .LBB2_384
; %bb.378:                              ;   in Loop: Header=BB2_313 Depth=1
	s_mov_b64 s[18:19], -1
	s_and_saveexec_b64 s[56:57], s[14:15]
	s_cbranch_execz .LBB2_380
; %bb.379:                              ;   in Loop: Header=BB2_313 Depth=1
	ds_read_b32 v3, v0 offset:720
	s_waitcnt lgkmcnt(0)
	v_and_b32_e32 v3, 15, v3
	v_cmp_eq_u32_e32 vcc, 0, v3
	s_orn2_b64 s[18:19], vcc, exec
.LBB2_380:                              ;   in Loop: Header=BB2_313 Depth=1
	s_or_b64 exec, exec, s[56:57]
	s_and_saveexec_b64 s[56:57], s[16:17]
	s_cbranch_execz .LBB2_382
; %bb.381:                              ;   in Loop: Header=BB2_313 Depth=1
	ds_read_b32 v3, v0 offset:784
	s_waitcnt lgkmcnt(0)
	v_and_b32_e32 v3, 15, v3
	v_cmp_eq_u32_e32 vcc, 0, v3
	s_and_b64 s[58:59], s[18:19], vcc
	s_andn2_b64 s[18:19], s[18:19], exec
	s_and_b64 s[58:59], s[58:59], exec
	s_or_b64 s[18:19], s[18:19], s[58:59]
.LBB2_382:                              ;   in Loop: Header=BB2_313 Depth=1
	s_or_b64 exec, exec, s[56:57]
	v_cmp_eq_u32_e32 vcc, 0, v2
	s_xor_b64 s[18:19], s[18:19], -1
	v_cndmask_b32_e32 v2, 0, v60, vcc
	v_cndmask_b32_e64 v10, 0, 1, s[18:19]
	v_lshlrev_b32_e32 v3, 1, v2
	s_mov_b64 s[58:59], -1
	v_cmp_ne_u32_e32 vcc, 0, v10
	v_mov_b32_e32 v16, 0
	s_cbranch_vccz .LBB2_385
; %bb.383:                              ;   in Loop: Header=BB2_313 Depth=1
	v_mov_b32_e32 v17, v0
	s_and_saveexec_b64 s[18:19], s[58:59]
	s_cbranch_execnz .LBB2_460
	s_branch .LBB2_488
.LBB2_384:                              ;   in Loop: Header=BB2_313 Depth=1
	s_mov_b64 s[18:19], 0
	s_and_saveexec_b64 s[56:57], s[10:11]
	s_cbranch_execnz .LBB2_489
	s_branch .LBB2_507
.LBB2_385:                              ;   in Loop: Header=BB2_313 Depth=1
	buffer_load_dword v11, off, s[0:3], s33 offset:76 ; 4-byte Folded Reload
	v_lshrrev_b32_e32 v10, 9, v2
	v_lshlrev_b32_e32 v61, 10, v10
	v_sub_u32_e32 v59, v3, v61
	v_cmp_lt_i32_e32 vcc, 15, v59
	v_sub_u32_e32 v30, v3, v46
	s_waitcnt vmcnt(0)
	v_addc_co_u32_e64 v62, s[18:19], v10, v11, vcc
	v_cmp_lt_i32_e64 s[18:19], 15, v30
	s_and_saveexec_b64 s[56:57], s[18:19]
	s_cbranch_execz .LBB2_421
; %bb.386:                              ;   in Loop: Header=BB2_313 Depth=1
	s_trap 2
	ds_read_b64 v[10:11], v0
	v_add_co_u32_e64 v52, s[18:19], v48, v46
	v_ashrrev_i32_e32 v12, 31, v46
	v_addc_co_u32_e64 v53, s[18:19], v49, v12, s[18:19]
	s_waitcnt lgkmcnt(0)
	v_add_co_u32_e64 v54, s[18:19], v10, v46
	v_addc_co_u32_e64 v55, s[18:19], v11, v12, s[18:19]
	v_add_co_u32_e64 v39, s[18:19], v50, v46
	v_addc_co_u32_e64 v40, s[18:19], v51, v12, s[18:19]
	s_mov_b64 s[58:59], 0
	s_branch .LBB2_388
.LBB2_387:                              ;   in Loop: Header=BB2_388 Depth=2
	s_or_b64 exec, exec, s[60:61]
	v_lshrrev_b32_e32 v14, 16, v14
	v_and_or_b32 v11, v11, s34, v14
	v_lshrrev_b32_e32 v14, 16, v31
	v_add_co_u32_e64 v52, s[18:19], v52, v56
	v_and_or_b32 v10, v10, s34, v14
	v_lshrrev_b32_e32 v14, 16, v15
	v_addc_co_u32_e64 v53, s[18:19], 0, v53, s[18:19]
	v_and_or_b32 v12, v12, s34, v14
	v_lshrrev_b32_e32 v14, 16, v16
	v_add_co_u32_e64 v54, s[18:19], v54, v56
	v_and_or_b32 v13, v13, s34, v14
	v_addc_co_u32_e64 v55, s[18:19], 0, v55, s[18:19]
	global_store_dwordx4 v[39:40], v[10:13], off glc slc
	v_add_co_u32_e64 v39, s[18:19], v39, v56
	v_addc_co_u32_e64 v40, s[18:19], 0, v40, s[18:19]
	v_sub_u32_e32 v30, v30, v56
	v_cmp_gt_i32_e64 s[18:19], 16, v30
	s_or_b64 s[58:59], s[18:19], s[58:59]
	v_sub_u32_e32 v62, v62, v41
	s_andn2_b64 exec, exec, s[58:59]
	s_cbranch_execz .LBB2_420
.LBB2_388:                              ;   Parent Loop BB2_313 Depth=1
                                        ; =>  This Inner Loop Header: Depth=2
	global_load_dwordx4 v[10:13], v[54:55], off glc slc
	global_load_dwordx4 v[14:17], v[52:53], off glc slc
	s_waitcnt vmcnt(1)
	v_lshlrev_b32_e32 v31, 16, v10
	s_waitcnt vmcnt(0)
	v_lshlrev_b32_e32 v34, 16, v14
	v_add_f32_e32 v34, v34, v31
	v_and_b32_e32 v31, 0x7f800000, v34
	v_cmp_ne_u32_e64 s[18:19], s95, v31
                                        ; implicit-def: $vgpr31
	s_and_saveexec_b64 s[60:61], s[18:19]
	s_xor_b64 s[18:19], exec, s[60:61]
; %bb.389:                              ;   in Loop: Header=BB2_388 Depth=2
	v_bfe_u32 v31, v34, 16, 1
	v_add3_u32 v31, v34, v31, s31
                                        ; implicit-def: $vgpr34
; %bb.390:                              ;   in Loop: Header=BB2_388 Depth=2
	s_andn2_saveexec_b64 s[60:61], s[18:19]
; %bb.391:                              ;   in Loop: Header=BB2_388 Depth=2
	v_or_b32_e32 v31, 0x10000, v34
	v_cmp_eq_u32_sdwa s[18:19], v34, v35 src0_sel:WORD_0 src1_sel:DWORD
	v_cndmask_b32_e64 v31, v31, v34, s[18:19]
; %bb.392:                              ;   in Loop: Header=BB2_388 Depth=2
	s_or_b64 exec, exec, s[60:61]
	v_and_b32_e32 v10, 0xffff0000, v10
	v_and_b32_e32 v14, 0xffff0000, v14
	v_add_f32_e32 v14, v14, v10
	v_and_b32_e32 v10, 0x7f800000, v14
	v_cmp_ne_u32_e64 s[18:19], s95, v10
                                        ; implicit-def: $vgpr10
	s_and_saveexec_b64 s[60:61], s[18:19]
	s_xor_b64 s[18:19], exec, s[60:61]
; %bb.393:                              ;   in Loop: Header=BB2_388 Depth=2
	v_bfe_u32 v10, v14, 16, 1
	v_add3_u32 v10, v14, v10, s31
                                        ; implicit-def: $vgpr14
; %bb.394:                              ;   in Loop: Header=BB2_388 Depth=2
	s_andn2_saveexec_b64 s[60:61], s[18:19]
; %bb.395:                              ;   in Loop: Header=BB2_388 Depth=2
	v_or_b32_e32 v10, 0x10000, v14
	v_cmp_eq_u32_sdwa s[18:19], v14, v35 src0_sel:WORD_0 src1_sel:DWORD
	v_cndmask_b32_e64 v10, v10, v14, s[18:19]
; %bb.396:                              ;   in Loop: Header=BB2_388 Depth=2
	s_or_b64 exec, exec, s[60:61]
	v_lshlrev_b32_e32 v14, 16, v11
	v_lshlrev_b32_e32 v34, 16, v15
	v_add_f32_e32 v34, v34, v14
	v_and_b32_e32 v14, 0x7f800000, v34
	v_cmp_ne_u32_e64 s[18:19], s95, v14
                                        ; implicit-def: $vgpr14
	s_and_saveexec_b64 s[60:61], s[18:19]
	s_xor_b64 s[18:19], exec, s[60:61]
; %bb.397:                              ;   in Loop: Header=BB2_388 Depth=2
	v_bfe_u32 v14, v34, 16, 1
	v_add3_u32 v14, v34, v14, s31
                                        ; implicit-def: $vgpr34
; %bb.398:                              ;   in Loop: Header=BB2_388 Depth=2
	s_andn2_saveexec_b64 s[60:61], s[18:19]
; %bb.399:                              ;   in Loop: Header=BB2_388 Depth=2
	v_or_b32_e32 v14, 0x10000, v34
	v_cmp_eq_u32_sdwa s[18:19], v34, v35 src0_sel:WORD_0 src1_sel:DWORD
	v_cndmask_b32_e64 v14, v14, v34, s[18:19]
; %bb.400:                              ;   in Loop: Header=BB2_388 Depth=2
	s_or_b64 exec, exec, s[60:61]
	v_and_b32_e32 v15, 0xffff0000, v15
	v_and_b32_e32 v11, 0xffff0000, v11
	v_add_f32_e32 v15, v15, v11
	v_and_b32_e32 v11, 0x7f800000, v15
	v_cmp_ne_u32_e64 s[18:19], s95, v11
                                        ; implicit-def: $vgpr11
	s_and_saveexec_b64 s[60:61], s[18:19]
	s_xor_b64 s[18:19], exec, s[60:61]
; %bb.401:                              ;   in Loop: Header=BB2_388 Depth=2
	v_bfe_u32 v11, v15, 16, 1
	v_add3_u32 v11, v15, v11, s31
                                        ; implicit-def: $vgpr15
; %bb.402:                              ;   in Loop: Header=BB2_388 Depth=2
	s_andn2_saveexec_b64 s[60:61], s[18:19]
; %bb.403:                              ;   in Loop: Header=BB2_388 Depth=2
	v_or_b32_e32 v11, 0x10000, v15
	v_cmp_eq_u32_sdwa s[18:19], v15, v35 src0_sel:WORD_0 src1_sel:DWORD
	v_cndmask_b32_e64 v11, v11, v15, s[18:19]
; %bb.404:                              ;   in Loop: Header=BB2_388 Depth=2
	s_or_b64 exec, exec, s[60:61]
	v_lshlrev_b32_e32 v15, 16, v12
	v_lshlrev_b32_e32 v34, 16, v16
	v_add_f32_e32 v34, v34, v15
	v_and_b32_e32 v15, 0x7f800000, v34
	v_cmp_ne_u32_e64 s[18:19], s95, v15
                                        ; implicit-def: $vgpr15
	s_and_saveexec_b64 s[60:61], s[18:19]
	s_xor_b64 s[18:19], exec, s[60:61]
; %bb.405:                              ;   in Loop: Header=BB2_388 Depth=2
	v_bfe_u32 v15, v34, 16, 1
	v_add3_u32 v15, v34, v15, s31
                                        ; implicit-def: $vgpr34
; %bb.406:                              ;   in Loop: Header=BB2_388 Depth=2
	s_andn2_saveexec_b64 s[60:61], s[18:19]
; %bb.407:                              ;   in Loop: Header=BB2_388 Depth=2
	v_or_b32_e32 v15, 0x10000, v34
	v_cmp_eq_u32_sdwa s[18:19], v34, v35 src0_sel:WORD_0 src1_sel:DWORD
	v_cndmask_b32_e64 v15, v15, v34, s[18:19]
; %bb.408:                              ;   in Loop: Header=BB2_388 Depth=2
	s_or_b64 exec, exec, s[60:61]
	v_and_b32_e32 v16, 0xffff0000, v16
	v_and_b32_e32 v12, 0xffff0000, v12
	v_add_f32_e32 v16, v16, v12
	v_and_b32_e32 v12, 0x7f800000, v16
	v_cmp_ne_u32_e64 s[18:19], s95, v12
                                        ; implicit-def: $vgpr12
	s_and_saveexec_b64 s[60:61], s[18:19]
	s_xor_b64 s[18:19], exec, s[60:61]
; %bb.409:                              ;   in Loop: Header=BB2_388 Depth=2
	v_bfe_u32 v12, v16, 16, 1
	v_add3_u32 v12, v16, v12, s31
                                        ; implicit-def: $vgpr16
; %bb.410:                              ;   in Loop: Header=BB2_388 Depth=2
	s_andn2_saveexec_b64 s[60:61], s[18:19]
; %bb.411:                              ;   in Loop: Header=BB2_388 Depth=2
	v_or_b32_e32 v12, 0x10000, v16
	v_cmp_eq_u32_sdwa s[18:19], v16, v35 src0_sel:WORD_0 src1_sel:DWORD
	v_cndmask_b32_e64 v12, v12, v16, s[18:19]
; %bb.412:                              ;   in Loop: Header=BB2_388 Depth=2
	s_or_b64 exec, exec, s[60:61]
	v_lshlrev_b32_e32 v16, 16, v13
	v_lshlrev_b32_e32 v34, 16, v17
	v_add_f32_e32 v34, v34, v16
	v_and_b32_e32 v16, 0x7f800000, v34
	v_cmp_ne_u32_e64 s[18:19], s95, v16
                                        ; implicit-def: $vgpr16
	s_and_saveexec_b64 s[60:61], s[18:19]
	s_xor_b64 s[18:19], exec, s[60:61]
; %bb.413:                              ;   in Loop: Header=BB2_388 Depth=2
	v_bfe_u32 v16, v34, 16, 1
	v_add3_u32 v16, v34, v16, s31
                                        ; implicit-def: $vgpr34
; %bb.414:                              ;   in Loop: Header=BB2_388 Depth=2
	s_andn2_saveexec_b64 s[60:61], s[18:19]
; %bb.415:                              ;   in Loop: Header=BB2_388 Depth=2
	v_or_b32_e32 v16, 0x10000, v34
	v_cmp_eq_u32_sdwa s[18:19], v34, v35 src0_sel:WORD_0 src1_sel:DWORD
	v_cndmask_b32_e64 v16, v16, v34, s[18:19]
; %bb.416:                              ;   in Loop: Header=BB2_388 Depth=2
	s_or_b64 exec, exec, s[60:61]
	v_and_b32_e32 v17, 0xffff0000, v17
	v_and_b32_e32 v13, 0xffff0000, v13
	v_add_f32_e32 v17, v17, v13
	v_and_b32_e32 v13, 0x7f800000, v17
	v_cmp_ne_u32_e64 s[18:19], s95, v13
                                        ; implicit-def: $vgpr13
	s_and_saveexec_b64 s[60:61], s[18:19]
	s_xor_b64 s[18:19], exec, s[60:61]
; %bb.417:                              ;   in Loop: Header=BB2_388 Depth=2
	v_bfe_u32 v13, v17, 16, 1
	v_add3_u32 v13, v17, v13, s31
                                        ; implicit-def: $vgpr17
; %bb.418:                              ;   in Loop: Header=BB2_388 Depth=2
	s_andn2_saveexec_b64 s[60:61], s[18:19]
	s_cbranch_execz .LBB2_387
; %bb.419:                              ;   in Loop: Header=BB2_388 Depth=2
	v_or_b32_e32 v13, 0x10000, v17
	v_cmp_eq_u32_sdwa s[18:19], v17, v35 src0_sel:WORD_0 src1_sel:DWORD
	v_cndmask_b32_e64 v13, v13, v17, s[18:19]
	s_branch .LBB2_387
.LBB2_420:                              ;   in Loop: Header=BB2_313 Depth=1
	s_or_b64 exec, exec, s[58:59]
.LBB2_421:                              ;   in Loop: Header=BB2_313 Depth=1
	s_or_b64 exec, exec, s[56:57]
	v_and_b32_e32 v10, 14, v3
	v_cndmask_b32_e32 v34, v59, v10, vcc
	v_mov_b32_e32 v16, 0
	v_cmp_ne_u32_e64 s[18:19], 0, v34
	s_mov_b64 s[58:59], 0
                                        ; implicit-def: $vgpr3
                                        ; implicit-def: $vgpr17
	s_and_saveexec_b64 s[56:57], s[18:19]
	s_cbranch_execz .LBB2_459
; %bb.422:                              ;   in Loop: Header=BB2_313 Depth=1
	v_sub_u32_e32 v3, v59, v10
	v_cndmask_b32_e32 v3, 0, v3, vcc
	v_cmp_lt_i32_e32 vcc, 0, v62
	v_cndmask_b32_e32 v10, 0, v41, vcc
	v_sub_u32_e32 v10, v10, v62
	v_lshl_add_u32 v10, v10, 6, v42
	v_ashrrev_i32_e32 v11, 31, v10
	v_lshrrev_b32_e32 v11, 26, v11
	v_add_u32_e32 v11, v10, v11
	v_ashrrev_i32_e32 v12, 6, v11
	v_and_b32_e32 v11, 0xffffffc0, v11
	v_add_u32_e32 v3, v3, v61
	v_sub_u32_e32 v61, v10, v11
	v_ashrrev_i32_e32 v11, 31, v34
	v_lshrrev_b32_e32 v11, 22, v11
	v_add_u32_e32 v11, v34, v11
	v_and_b32_e32 v30, 0xfffffc00, v11
	v_lshlrev_b32_e32 v10, 4, v61
	v_sub_u32_e32 v59, v34, v30
	v_lshl_add_u32 v10, v12, 10, v10
	v_ashrrev_i32_e32 v13, 10, v11
	v_cmp_lt_i32_e32 vcc, 15, v59
	v_sub_u32_e32 v31, v34, v10
	v_addc_co_u32_e64 v11, s[18:19], 0, v13, vcc
	v_sub_u32_e32 v62, v11, v12
	v_cmp_lt_i32_e64 s[18:19], 15, v31
	s_and_saveexec_b64 s[58:59], s[18:19]
	s_cbranch_execz .LBB2_458
; %bb.423:                              ;   in Loop: Header=BB2_313 Depth=1
	v_add_u32_e32 v12, v10, v3
	s_trap 2
	ds_read_b64 v[10:11], v0
	v_ashrrev_i32_e32 v13, 31, v12
	v_add_co_u32_e64 v52, s[18:19], v12, v48
	v_addc_co_u32_e64 v53, s[18:19], v13, v49, s[18:19]
	s_waitcnt lgkmcnt(0)
	v_add_co_u32_e64 v54, s[18:19], v10, v12
	v_addc_co_u32_e64 v55, s[18:19], v11, v13, s[18:19]
	v_add_co_u32_e64 v39, s[18:19], v12, v50
	v_addc_co_u32_e64 v40, s[18:19], v13, v51, s[18:19]
	s_mov_b64 s[60:61], 0
	s_branch .LBB2_425
.LBB2_424:                              ;   in Loop: Header=BB2_425 Depth=2
	s_or_b64 exec, exec, s[62:63]
	v_lshrrev_b32_e32 v14, 16, v14
	v_and_or_b32 v11, v11, s34, v14
	v_lshrrev_b32_e32 v14, 16, v47
	v_add_co_u32_e64 v52, s[18:19], v52, v56
	v_and_or_b32 v10, v10, s34, v14
	v_lshrrev_b32_e32 v14, 16, v15
	v_addc_co_u32_e64 v53, s[18:19], 0, v53, s[18:19]
	v_and_or_b32 v12, v12, s34, v14
	v_lshrrev_b32_e32 v14, 16, v16
	v_add_co_u32_e64 v54, s[18:19], v54, v56
	v_and_or_b32 v13, v13, s34, v14
	v_addc_co_u32_e64 v55, s[18:19], 0, v55, s[18:19]
	global_store_dwordx4 v[39:40], v[10:13], off glc slc
	v_add_co_u32_e64 v39, s[18:19], v39, v56
	v_addc_co_u32_e64 v40, s[18:19], 0, v40, s[18:19]
	v_sub_u32_e32 v31, v31, v56
	v_cmp_gt_i32_e64 s[18:19], 16, v31
	s_or_b64 s[60:61], s[18:19], s[60:61]
	v_sub_u32_e32 v62, v62, v41
	s_andn2_b64 exec, exec, s[60:61]
	s_cbranch_execz .LBB2_457
.LBB2_425:                              ;   Parent Loop BB2_313 Depth=1
                                        ; =>  This Inner Loop Header: Depth=2
	global_load_dwordx4 v[10:13], v[54:55], off glc slc
	global_load_dwordx4 v[14:17], v[52:53], off glc slc
	s_waitcnt vmcnt(1)
	v_lshlrev_b32_e32 v43, 16, v10
	s_waitcnt vmcnt(0)
	v_lshlrev_b32_e32 v47, 16, v14
	v_add_f32_e32 v43, v47, v43
	v_and_b32_e32 v47, 0x7f800000, v43
	v_cmp_ne_u32_e64 s[18:19], s95, v47
                                        ; implicit-def: $vgpr47
	s_and_saveexec_b64 s[62:63], s[18:19]
	s_xor_b64 s[18:19], exec, s[62:63]
; %bb.426:                              ;   in Loop: Header=BB2_425 Depth=2
	v_bfe_u32 v47, v43, 16, 1
	v_add3_u32 v47, v43, v47, s31
                                        ; implicit-def: $vgpr43
; %bb.427:                              ;   in Loop: Header=BB2_425 Depth=2
	s_andn2_saveexec_b64 s[62:63], s[18:19]
; %bb.428:                              ;   in Loop: Header=BB2_425 Depth=2
	v_or_b32_e32 v47, 0x10000, v43
	v_cmp_eq_u32_sdwa s[18:19], v43, v35 src0_sel:WORD_0 src1_sel:DWORD
	v_cndmask_b32_e64 v47, v47, v43, s[18:19]
; %bb.429:                              ;   in Loop: Header=BB2_425 Depth=2
	s_or_b64 exec, exec, s[62:63]
	v_and_b32_e32 v10, 0xffff0000, v10
	v_and_b32_e32 v14, 0xffff0000, v14
	v_add_f32_e32 v14, v14, v10
	v_and_b32_e32 v10, 0x7f800000, v14
	v_cmp_ne_u32_e64 s[18:19], s95, v10
                                        ; implicit-def: $vgpr10
	s_and_saveexec_b64 s[62:63], s[18:19]
	s_xor_b64 s[18:19], exec, s[62:63]
; %bb.430:                              ;   in Loop: Header=BB2_425 Depth=2
	v_bfe_u32 v10, v14, 16, 1
	v_add3_u32 v10, v14, v10, s31
                                        ; implicit-def: $vgpr14
; %bb.431:                              ;   in Loop: Header=BB2_425 Depth=2
	s_andn2_saveexec_b64 s[62:63], s[18:19]
; %bb.432:                              ;   in Loop: Header=BB2_425 Depth=2
	v_or_b32_e32 v10, 0x10000, v14
	v_cmp_eq_u32_sdwa s[18:19], v14, v35 src0_sel:WORD_0 src1_sel:DWORD
	v_cndmask_b32_e64 v10, v10, v14, s[18:19]
; %bb.433:                              ;   in Loop: Header=BB2_425 Depth=2
	s_or_b64 exec, exec, s[62:63]
	v_lshlrev_b32_e32 v14, 16, v11
	v_lshlrev_b32_e32 v43, 16, v15
	v_add_f32_e32 v43, v43, v14
	v_and_b32_e32 v14, 0x7f800000, v43
	v_cmp_ne_u32_e64 s[18:19], s95, v14
                                        ; implicit-def: $vgpr14
	s_and_saveexec_b64 s[62:63], s[18:19]
	s_xor_b64 s[18:19], exec, s[62:63]
; %bb.434:                              ;   in Loop: Header=BB2_425 Depth=2
	v_bfe_u32 v14, v43, 16, 1
	v_add3_u32 v14, v43, v14, s31
                                        ; implicit-def: $vgpr43
; %bb.435:                              ;   in Loop: Header=BB2_425 Depth=2
	s_andn2_saveexec_b64 s[62:63], s[18:19]
; %bb.436:                              ;   in Loop: Header=BB2_425 Depth=2
	v_or_b32_e32 v14, 0x10000, v43
	v_cmp_eq_u32_sdwa s[18:19], v43, v35 src0_sel:WORD_0 src1_sel:DWORD
	v_cndmask_b32_e64 v14, v14, v43, s[18:19]
; %bb.437:                              ;   in Loop: Header=BB2_425 Depth=2
	s_or_b64 exec, exec, s[62:63]
	v_and_b32_e32 v15, 0xffff0000, v15
	v_and_b32_e32 v11, 0xffff0000, v11
	v_add_f32_e32 v15, v15, v11
	v_and_b32_e32 v11, 0x7f800000, v15
	v_cmp_ne_u32_e64 s[18:19], s95, v11
                                        ; implicit-def: $vgpr11
	s_and_saveexec_b64 s[62:63], s[18:19]
	s_xor_b64 s[18:19], exec, s[62:63]
; %bb.438:                              ;   in Loop: Header=BB2_425 Depth=2
	v_bfe_u32 v11, v15, 16, 1
	v_add3_u32 v11, v15, v11, s31
                                        ; implicit-def: $vgpr15
; %bb.439:                              ;   in Loop: Header=BB2_425 Depth=2
	s_andn2_saveexec_b64 s[62:63], s[18:19]
; %bb.440:                              ;   in Loop: Header=BB2_425 Depth=2
	v_or_b32_e32 v11, 0x10000, v15
	v_cmp_eq_u32_sdwa s[18:19], v15, v35 src0_sel:WORD_0 src1_sel:DWORD
	v_cndmask_b32_e64 v11, v11, v15, s[18:19]
; %bb.441:                              ;   in Loop: Header=BB2_425 Depth=2
	s_or_b64 exec, exec, s[62:63]
	v_lshlrev_b32_e32 v15, 16, v12
	v_lshlrev_b32_e32 v43, 16, v16
	v_add_f32_e32 v43, v43, v15
	v_and_b32_e32 v15, 0x7f800000, v43
	v_cmp_ne_u32_e64 s[18:19], s95, v15
                                        ; implicit-def: $vgpr15
	s_and_saveexec_b64 s[62:63], s[18:19]
	s_xor_b64 s[18:19], exec, s[62:63]
; %bb.442:                              ;   in Loop: Header=BB2_425 Depth=2
	v_bfe_u32 v15, v43, 16, 1
	v_add3_u32 v15, v43, v15, s31
                                        ; implicit-def: $vgpr43
; %bb.443:                              ;   in Loop: Header=BB2_425 Depth=2
	s_andn2_saveexec_b64 s[62:63], s[18:19]
; %bb.444:                              ;   in Loop: Header=BB2_425 Depth=2
	v_or_b32_e32 v15, 0x10000, v43
	v_cmp_eq_u32_sdwa s[18:19], v43, v35 src0_sel:WORD_0 src1_sel:DWORD
	v_cndmask_b32_e64 v15, v15, v43, s[18:19]
; %bb.445:                              ;   in Loop: Header=BB2_425 Depth=2
	s_or_b64 exec, exec, s[62:63]
	v_and_b32_e32 v16, 0xffff0000, v16
	v_and_b32_e32 v12, 0xffff0000, v12
	v_add_f32_e32 v16, v16, v12
	v_and_b32_e32 v12, 0x7f800000, v16
	v_cmp_ne_u32_e64 s[18:19], s95, v12
                                        ; implicit-def: $vgpr12
	s_and_saveexec_b64 s[62:63], s[18:19]
	s_xor_b64 s[18:19], exec, s[62:63]
; %bb.446:                              ;   in Loop: Header=BB2_425 Depth=2
	v_bfe_u32 v12, v16, 16, 1
	v_add3_u32 v12, v16, v12, s31
                                        ; implicit-def: $vgpr16
; %bb.447:                              ;   in Loop: Header=BB2_425 Depth=2
	s_andn2_saveexec_b64 s[62:63], s[18:19]
; %bb.448:                              ;   in Loop: Header=BB2_425 Depth=2
	v_or_b32_e32 v12, 0x10000, v16
	v_cmp_eq_u32_sdwa s[18:19], v16, v35 src0_sel:WORD_0 src1_sel:DWORD
	v_cndmask_b32_e64 v12, v12, v16, s[18:19]
; %bb.449:                              ;   in Loop: Header=BB2_425 Depth=2
	s_or_b64 exec, exec, s[62:63]
	v_lshlrev_b32_e32 v16, 16, v13
	v_lshlrev_b32_e32 v43, 16, v17
	v_add_f32_e32 v43, v43, v16
	v_and_b32_e32 v16, 0x7f800000, v43
	v_cmp_ne_u32_e64 s[18:19], s95, v16
                                        ; implicit-def: $vgpr16
	s_and_saveexec_b64 s[62:63], s[18:19]
	s_xor_b64 s[18:19], exec, s[62:63]
; %bb.450:                              ;   in Loop: Header=BB2_425 Depth=2
	v_bfe_u32 v16, v43, 16, 1
	v_add3_u32 v16, v43, v16, s31
                                        ; implicit-def: $vgpr43
; %bb.451:                              ;   in Loop: Header=BB2_425 Depth=2
	s_andn2_saveexec_b64 s[62:63], s[18:19]
; %bb.452:                              ;   in Loop: Header=BB2_425 Depth=2
	v_or_b32_e32 v16, 0x10000, v43
	v_cmp_eq_u32_sdwa s[18:19], v43, v35 src0_sel:WORD_0 src1_sel:DWORD
	v_cndmask_b32_e64 v16, v16, v43, s[18:19]
; %bb.453:                              ;   in Loop: Header=BB2_425 Depth=2
	s_or_b64 exec, exec, s[62:63]
	v_and_b32_e32 v17, 0xffff0000, v17
	v_and_b32_e32 v13, 0xffff0000, v13
	v_add_f32_e32 v17, v17, v13
	v_and_b32_e32 v13, 0x7f800000, v17
	v_cmp_ne_u32_e64 s[18:19], s95, v13
                                        ; implicit-def: $vgpr13
	s_and_saveexec_b64 s[62:63], s[18:19]
	s_xor_b64 s[18:19], exec, s[62:63]
; %bb.454:                              ;   in Loop: Header=BB2_425 Depth=2
	v_bfe_u32 v13, v17, 16, 1
	v_add3_u32 v13, v17, v13, s31
                                        ; implicit-def: $vgpr17
; %bb.455:                              ;   in Loop: Header=BB2_425 Depth=2
	s_andn2_saveexec_b64 s[62:63], s[18:19]
	s_cbranch_execz .LBB2_424
; %bb.456:                              ;   in Loop: Header=BB2_425 Depth=2
	v_or_b32_e32 v13, 0x10000, v17
	v_cmp_eq_u32_sdwa s[18:19], v17, v35 src0_sel:WORD_0 src1_sel:DWORD
	v_cndmask_b32_e64 v13, v13, v17, s[18:19]
	s_branch .LBB2_424
.LBB2_457:                              ;   in Loop: Header=BB2_313 Depth=1
	s_or_b64 exec, exec, s[60:61]
.LBB2_458:                              ;   in Loop: Header=BB2_313 Depth=1
	s_or_b64 exec, exec, s[58:59]
	v_and_b32_e32 v10, 14, v34
	v_sub_u32_e32 v11, v59, v10
	v_cndmask_b32_e32 v11, 0, v11, vcc
	v_add3_u32 v16, v30, v3, v11
	v_cndmask_b32_e32 v3, v59, v10, vcc
	v_cmp_lt_i32_e32 vcc, 0, v62
	v_cndmask_b32_e32 v10, 0, v41, vcc
	v_sub_u32_e32 v10, v10, v62
	v_cmp_ne_u32_e32 vcc, 0, v3
	v_lshl_add_u32 v17, v10, 6, v61
	s_and_b64 s[58:59], vcc, exec
.LBB2_459:                              ;   in Loop: Header=BB2_313 Depth=1
	s_or_b64 exec, exec, s[56:57]
	s_and_saveexec_b64 s[18:19], s[58:59]
	s_cbranch_execz .LBB2_488
.LBB2_460:                              ;   in Loop: Header=BB2_313 Depth=1
	v_ashrrev_i32_e32 v10, 31, v17
	v_ashrrev_i32_e32 v11, 31, v3
	v_lshrrev_b32_e32 v10, 26, v10
	v_lshrrev_b32_e32 v11, 23, v11
	v_add_u32_e32 v10, v17, v10
	v_add_u32_e32 v11, v3, v11
	v_ashrrev_i32_e32 v30, 6, v10
	v_ashrrev_i32_e32 v34, 9, v11
	v_sub_u32_e32 v31, v34, v30
	v_cmp_lt_i32_e32 vcc, 0, v31
	s_and_saveexec_b64 s[56:57], vcc
	s_cbranch_execz .LBB2_480
; %bb.461:                              ;   in Loop: Header=BB2_313 Depth=1
	v_and_b32_e32 v10, 0x7fffffc0, v10
	v_sub_u32_e32 v10, v17, v10
	s_trap 2
	ds_read_b64 v[12:13], v0
	v_lshlrev_b32_e32 v10, 1, v10
	v_lshlrev_b32_e32 v11, 9, v30
	v_add3_u32 v14, v10, v16, v11
	v_ashrrev_i32_e32 v15, 31, v14
	v_add_co_u32_e32 v10, vcc, v14, v48
	v_addc_co_u32_e32 v11, vcc, v15, v49, vcc
	s_waitcnt lgkmcnt(0)
	v_add_co_u32_e32 v12, vcc, v12, v14
	v_addc_co_u32_e32 v13, vcc, v13, v15, vcc
	v_add_co_u32_e32 v14, vcc, v14, v50
	v_addc_co_u32_e32 v15, vcc, v15, v51, vcc
	s_mov_b64 s[58:59], 0
	s_branch .LBB2_463
.LBB2_462:                              ;   in Loop: Header=BB2_463 Depth=2
	s_or_b64 exec, exec, s[60:61]
	v_add_co_u32_e32 v10, vcc, v10, v57
	v_addc_co_u32_e32 v11, vcc, 0, v11, vcc
	v_add_co_u32_e32 v12, vcc, v12, v57
	v_addc_co_u32_e32 v13, vcc, 0, v13, vcc
	v_sub_u32_e32 v31, v31, v41
	v_cmp_gt_i32_e32 vcc, 1, v31
	flat_store_short_d16_hi v[14:15], v39 glc slc
	flat_store_short_d16_hi v[14:15], v54 offset:128 glc slc
	flat_store_short_d16_hi v[14:15], v55 offset:256 glc slc
	;; [unrolled: 1-line block ×3, first 2 shown]
	s_or_b64 s[58:59], vcc, s[58:59]
	v_add_co_u32_e32 v14, vcc, v14, v57
	v_addc_co_u32_e32 v15, vcc, 0, v15, vcc
	s_andn2_b64 exec, exec, s[58:59]
	s_cbranch_execz .LBB2_479
.LBB2_463:                              ;   Parent Loop BB2_313 Depth=1
                                        ; =>  This Inner Loop Header: Depth=2
	flat_load_ushort v39, v[12:13] glc slc
	flat_load_ushort v55, v[10:11] offset:256 glc slc
	flat_load_ushort v52, v[10:11] offset:384 glc slc
	flat_load_ushort v43, v[10:11] glc slc
	flat_load_ushort v54, v[10:11] offset:128 glc slc
	flat_load_ushort v40, v[12:13] offset:256 glc slc
	flat_load_ushort v53, v[12:13] offset:384 glc slc
	flat_load_ushort v47, v[12:13] offset:128 glc slc
	s_waitcnt vmcnt(0) lgkmcnt(0)
	v_lshlrev_b32_e32 v39, 16, v39
	v_lshlrev_b32_e32 v43, 16, v43
	v_add_f32_e32 v43, v43, v39
	v_and_b32_e32 v39, 0x7f800000, v43
	v_cmp_ne_u32_e32 vcc, s95, v39
                                        ; implicit-def: $vgpr39
	s_and_saveexec_b64 s[60:61], vcc
	s_xor_b64 s[60:61], exec, s[60:61]
; %bb.464:                              ;   in Loop: Header=BB2_463 Depth=2
	v_bfe_u32 v39, v43, 16, 1
	v_add3_u32 v39, v43, v39, s31
                                        ; implicit-def: $vgpr43
; %bb.465:                              ;   in Loop: Header=BB2_463 Depth=2
	s_andn2_saveexec_b64 s[60:61], s[60:61]
; %bb.466:                              ;   in Loop: Header=BB2_463 Depth=2
	v_or_b32_e32 v39, 0x10000, v43
	v_cmp_eq_u32_sdwa vcc, v43, v35 src0_sel:WORD_0 src1_sel:DWORD
	v_cndmask_b32_e32 v39, v39, v43, vcc
; %bb.467:                              ;   in Loop: Header=BB2_463 Depth=2
	s_or_b64 exec, exec, s[60:61]
	v_lshlrev_b32_e32 v54, 16, v54
	v_lshlrev_b32_e32 v43, 16, v47
	v_add_f32_e32 v43, v54, v43
	v_and_b32_e32 v54, 0x7f800000, v43
	v_cmp_ne_u32_e32 vcc, s95, v54
                                        ; implicit-def: $vgpr54
	s_and_saveexec_b64 s[60:61], vcc
	s_xor_b64 s[60:61], exec, s[60:61]
; %bb.468:                              ;   in Loop: Header=BB2_463 Depth=2
	v_bfe_u32 v54, v43, 16, 1
	v_add3_u32 v54, v43, v54, s31
                                        ; implicit-def: $vgpr43
; %bb.469:                              ;   in Loop: Header=BB2_463 Depth=2
	s_andn2_saveexec_b64 s[60:61], s[60:61]
; %bb.470:                              ;   in Loop: Header=BB2_463 Depth=2
	v_or_b32_e32 v54, 0x10000, v43
	v_cmp_eq_u32_sdwa vcc, v43, v35 src0_sel:WORD_0 src1_sel:DWORD
	v_cndmask_b32_e32 v54, v54, v43, vcc
; %bb.471:                              ;   in Loop: Header=BB2_463 Depth=2
	s_or_b64 exec, exec, s[60:61]
	v_lshlrev_b32_e32 v55, 16, v55
	v_lshlrev_b32_e32 v40, 16, v40
	v_add_f32_e32 v40, v55, v40
	v_and_b32_e32 v55, 0x7f800000, v40
	v_cmp_ne_u32_e32 vcc, s95, v55
                                        ; implicit-def: $vgpr55
	s_and_saveexec_b64 s[60:61], vcc
	s_xor_b64 s[60:61], exec, s[60:61]
; %bb.472:                              ;   in Loop: Header=BB2_463 Depth=2
	v_bfe_u32 v55, v40, 16, 1
	v_add3_u32 v55, v40, v55, s31
                                        ; implicit-def: $vgpr40
; %bb.473:                              ;   in Loop: Header=BB2_463 Depth=2
	s_andn2_saveexec_b64 s[60:61], s[60:61]
; %bb.474:                              ;   in Loop: Header=BB2_463 Depth=2
	v_or_b32_e32 v55, 0x10000, v40
	v_cmp_eq_u32_sdwa vcc, v40, v35 src0_sel:WORD_0 src1_sel:DWORD
	v_cndmask_b32_e32 v55, v55, v40, vcc
; %bb.475:                              ;   in Loop: Header=BB2_463 Depth=2
	s_or_b64 exec, exec, s[60:61]
	v_lshlrev_b32_e32 v52, 16, v52
	v_lshlrev_b32_e32 v53, 16, v53
	v_add_f32_e32 v53, v52, v53
	v_and_b32_e32 v52, 0x7f800000, v53
	v_cmp_ne_u32_e32 vcc, s95, v52
                                        ; implicit-def: $vgpr52
	s_and_saveexec_b64 s[60:61], vcc
	s_xor_b64 s[60:61], exec, s[60:61]
; %bb.476:                              ;   in Loop: Header=BB2_463 Depth=2
	v_bfe_u32 v52, v53, 16, 1
	v_add3_u32 v52, v53, v52, s31
                                        ; implicit-def: $vgpr53
; %bb.477:                              ;   in Loop: Header=BB2_463 Depth=2
	s_andn2_saveexec_b64 s[60:61], s[60:61]
	s_cbranch_execz .LBB2_462
; %bb.478:                              ;   in Loop: Header=BB2_463 Depth=2
	v_or_b32_e32 v52, 0x10000, v53
	v_cmp_eq_u32_sdwa vcc, v53, v35 src0_sel:WORD_0 src1_sel:DWORD
	v_cndmask_b32_e32 v52, v52, v53, vcc
	s_branch .LBB2_462
.LBB2_479:                              ;   in Loop: Header=BB2_313 Depth=1
	s_or_b64 exec, exec, s[58:59]
.LBB2_480:                              ;   in Loop: Header=BB2_313 Depth=1
	s_or_b64 exec, exec, s[56:57]
	v_lshlrev_b32_e32 v10, 9, v34
	v_cmp_ne_u32_e32 vcc, v3, v10
	s_and_b64 exec, exec, vcc
	s_cbranch_execz .LBB2_488
; %bb.481:                              ;   in Loop: Header=BB2_313 Depth=1
	v_lshlrev_b32_e32 v11, 6, v30
	v_sub_u32_e32 v11, v17, v11
	v_lshlrev_b32_e32 v12, 6, v31
	v_sub_u32_e32 v11, v11, v12
	v_ashrrev_i32_e32 v12, 31, v11
	v_lshrrev_b32_e32 v12, 26, v12
	v_add_u32_e32 v12, v11, v12
	v_and_b32_e32 v13, 0x7fffffc0, v12
	v_sub_u32_e32 v11, v11, v13
	v_lshlrev_b32_e32 v12, 1, v12
	v_and_b32_e32 v12, 0xffffff80, v12
	v_lshlrev_b32_e32 v11, 1, v11
	v_add3_u32 v10, v12, v11, v10
	v_sub_u32_e32 v3, v3, v10
	v_cmp_lt_i32_e32 vcc, 1, v3
	s_and_b64 exec, exec, vcc
	s_cbranch_execz .LBB2_488
; %bb.482:                              ;   in Loop: Header=BB2_313 Depth=1
	s_trap 2
	ds_read_b64 v[12:13], v0
	v_add_u32_e32 v14, v10, v16
	v_ashrrev_i32_e32 v15, 31, v14
	v_add_co_u32_e32 v10, vcc, v14, v48
	v_addc_co_u32_e32 v11, vcc, v15, v49, vcc
	s_waitcnt lgkmcnt(0)
	v_add_co_u32_e32 v12, vcc, v12, v14
	v_addc_co_u32_e32 v13, vcc, v13, v15, vcc
	v_add_co_u32_e32 v14, vcc, v14, v50
	v_addc_co_u32_e32 v15, vcc, v15, v51, vcc
	s_mov_b64 s[56:57], 0
	s_branch .LBB2_484
.LBB2_483:                              ;   in Loop: Header=BB2_484 Depth=2
	s_or_b64 exec, exec, s[58:59]
	v_add_co_u32_e32 v10, vcc, v10, v58
	v_addc_co_u32_e32 v11, vcc, 0, v11, vcc
	v_add_co_u32_e32 v12, vcc, v12, v58
	v_addc_co_u32_e32 v13, vcc, 0, v13, vcc
	v_sub_u32_e32 v3, v3, v58
	v_cmp_gt_i32_e32 vcc, 2, v3
	flat_store_short_d16_hi v[14:15], v17 glc slc
	s_or_b64 s[56:57], vcc, s[56:57]
	v_add_co_u32_e32 v14, vcc, v14, v58
	v_addc_co_u32_e32 v15, vcc, 0, v15, vcc
	s_andn2_b64 exec, exec, s[56:57]
	s_cbranch_execz .LBB2_488
.LBB2_484:                              ;   Parent Loop BB2_313 Depth=1
                                        ; =>  This Inner Loop Header: Depth=2
	flat_load_ushort v16, v[12:13] glc slc
	flat_load_ushort v17, v[10:11] glc slc
	s_waitcnt vmcnt(0) lgkmcnt(0)
	v_lshlrev_b32_e32 v16, 16, v16
	v_lshlrev_b32_e32 v17, 16, v17
	v_add_f32_e32 v16, v17, v16
	v_and_b32_e32 v17, 0x7f800000, v16
	v_cmp_ne_u32_e32 vcc, s95, v17
                                        ; implicit-def: $vgpr17
	s_and_saveexec_b64 s[58:59], vcc
	s_xor_b64 s[58:59], exec, s[58:59]
; %bb.485:                              ;   in Loop: Header=BB2_484 Depth=2
	v_bfe_u32 v17, v16, 16, 1
	v_add3_u32 v17, v16, v17, s31
                                        ; implicit-def: $vgpr16
; %bb.486:                              ;   in Loop: Header=BB2_484 Depth=2
	s_andn2_saveexec_b64 s[58:59], s[58:59]
	s_cbranch_execz .LBB2_483
; %bb.487:                              ;   in Loop: Header=BB2_484 Depth=2
	v_or_b32_e32 v17, 0x10000, v16
	v_cmp_eq_u32_sdwa vcc, v16, v35 src0_sel:WORD_0 src1_sel:DWORD
	v_cndmask_b32_e32 v17, v17, v16, vcc
	s_branch .LBB2_483
.LBB2_488:                              ;   in Loop: Header=BB2_313 Depth=1
	s_or_b64 exec, exec, s[18:19]
	v_cmp_ne_u32_e64 s[18:19], 0, v2
	s_and_saveexec_b64 s[56:57], s[10:11]
	s_cbranch_execz .LBB2_507
.LBB2_489:                              ;   in Loop: Header=BB2_313 Depth=1
	s_and_saveexec_b64 s[58:59], s[28:29]
	s_xor_b64 s[58:59], exec, s[58:59]
	s_cbranch_execz .LBB2_504
; %bb.490:                              ;   in Loop: Header=BB2_313 Depth=1
	s_and_saveexec_b64 s[60:61], s[12:13]
	s_cbranch_execz .LBB2_503
; %bb.491:                              ;   in Loop: Header=BB2_313 Depth=1
	s_mov_b64 s[72:73], exec
	v_mbcnt_lo_u32_b32 v2, s72, 0
	v_mbcnt_hi_u32_b32 v2, s73, v2
	v_cmp_eq_u32_e32 vcc, 0, v2
	s_waitcnt vmcnt(0) lgkmcnt(0)
	buffer_wbinvl1_vol
	s_and_saveexec_b64 s[62:63], vcc
	s_cbranch_execz .LBB2_493
; %bb.492:                              ;   in Loop: Header=BB2_313 Depth=1
	s_bcnt1_i32_b64 s72, s[72:73]
	v_mov_b32_e32 v34, s72
	ds_add_u64 v0, v[34:35]
	s_trap 2
.LBB2_493:                              ;   in Loop: Header=BB2_313 Depth=1
	s_or_b64 exec, exec, s[62:63]
	s_trap 2
	ds_read_b64 v[2:3], v0
	s_waitcnt lgkmcnt(0)
	v_add_co_u32_e32 v26, vcc, v26, v41
	v_addc_co_u32_e32 v27, vcc, 0, v27, vcc
	v_cmp_lt_u64_e32 vcc, v[2:3], v[26:27]
	s_and_saveexec_b64 s[62:63], vcc
	s_cbranch_execz .LBB2_502
; %bb.494:                              ;   in Loop: Header=BB2_313 Depth=1
	s_mov_b32 s92, 0
	s_mov_b64 s[72:73], 0
                                        ; implicit-def: $sgpr74_sgpr75
                                        ; implicit-def: $sgpr76_sgpr77
	s_branch .LBB2_496
.LBB2_495:                              ;   in Loop: Header=BB2_496 Depth=2
	s_or_b64 exec, exec, s[88:89]
	s_and_b64 s[78:79], exec, s[90:91]
	s_or_b64 s[72:73], s[78:79], s[72:73]
	s_andn2_b64 s[74:75], s[74:75], exec
	s_and_b64 s[78:79], s[76:77], exec
	s_or_b64 s[74:75], s[74:75], s[78:79]
	s_andn2_b64 exec, exec, s[72:73]
	s_cbranch_execz .LBB2_500
.LBB2_496:                              ;   Parent Loop BB2_313 Depth=1
                                        ; =>  This Inner Loop Header: Depth=2
	s_add_i32 s92, s92, 1
	s_cmpk_lg_i32 s92, 0x2710
	s_cselect_b64 s[78:79], -1, 0
	s_and_b64 vcc, exec, s[78:79]
	s_cbranch_vccz .LBB2_498
; %bb.497:                              ;   in Loop: Header=BB2_496 Depth=2
	s_mov_b64 s[90:91], -1
	s_or_b64 s[76:77], s[76:77], exec
	s_and_saveexec_b64 s[88:89], s[78:79]
	s_cbranch_execz .LBB2_495
	s_branch .LBB2_499
.LBB2_498:                              ;   in Loop: Header=BB2_496 Depth=2
	s_trap 2
	ds_read_b64 v[2:3], v0
	s_andn2_b64 s[78:79], s[78:79], exec
	s_mov_b32 s92, 0
	s_waitcnt lgkmcnt(0)
	flat_load_dword v2, v[2:3] glc
	s_waitcnt vmcnt(0) lgkmcnt(0)
	buffer_wbinvl1_vol
	v_cmp_eq_u32_e32 vcc, 0, v2
	s_and_b64 s[88:89], vcc, exec
	s_or_b64 s[78:79], s[78:79], s[88:89]
	s_mov_b64 s[90:91], -1
	s_or_b64 s[76:77], s[76:77], exec
	s_and_saveexec_b64 s[88:89], s[78:79]
	s_cbranch_execz .LBB2_495
.LBB2_499:                              ;   in Loop: Header=BB2_496 Depth=2
	s_sleep 1
	s_trap 2
	ds_read_b64 v[2:3], v0
	s_waitcnt lgkmcnt(0)
	s_andn2_b64 s[76:77], s[76:77], exec
	v_cmp_ge_u64_e32 vcc, v[2:3], v[26:27]
	s_orn2_b64 s[90:91], vcc, exec
	s_branch .LBB2_495
.LBB2_500:                              ;   in Loop: Header=BB2_313 Depth=1
	s_or_b64 exec, exec, s[72:73]
	s_and_saveexec_b64 s[72:73], s[74:75]
	s_xor_b64 s[72:73], exec, s[72:73]
	s_cbranch_execz .LBB2_502
; %bb.501:                              ;   in Loop: Header=BB2_313 Depth=1
	v_mov_b32_e32 v2, 1
	ds_write_b32 v0, v2
	s_trap 2
.LBB2_502:                              ;   in Loop: Header=BB2_313 Depth=1
	s_or_b64 exec, exec, s[62:63]
	;;#ASMSTART
	s_wakeup
	;;#ASMEND
.LBB2_503:                              ;   in Loop: Header=BB2_313 Depth=1
	s_or_b64 exec, exec, s[60:61]
.LBB2_504:                              ;   in Loop: Header=BB2_313 Depth=1
	s_andn2_saveexec_b64 s[58:59], s[58:59]
	s_cbranch_execz .LBB2_506
; %bb.505:                              ;   in Loop: Header=BB2_313 Depth=1
	s_waitcnt vmcnt(0) lgkmcnt(0)
	buffer_wbinvl1_vol
	s_barrier
.LBB2_506:                              ;   in Loop: Header=BB2_313 Depth=1
	s_or_b64 exec, exec, s[58:59]
.LBB2_507:                              ;   in Loop: Header=BB2_313 Depth=1
	s_or_b64 exec, exec, s[56:57]
	v_and_b32_e32 v2, 16, v44
	v_cmp_ne_u32_e32 vcc, 0, v2
	s_and_b64 s[56:57], vcc, s[18:19]
	s_and_saveexec_b64 s[18:19], s[56:57]
	s_cbranch_execz .LBB2_509
; %bb.508:                              ;   in Loop: Header=BB2_313 Depth=1
	s_waitcnt vmcnt(0) lgkmcnt(0)
	buffer_wbinvl1_vol
.LBB2_509:                              ;   in Loop: Header=BB2_313 Depth=1
	s_or_b64 exec, exec, s[18:19]
	v_and_b32_e32 v2, 32, v44
	v_cmp_ne_u32_e32 vcc, 0, v2
	s_and_saveexec_b64 s[18:19], vcc
	s_cbranch_execz .LBB2_511
; %bb.510:                              ;   in Loop: Header=BB2_313 Depth=1
	v_add_co_u32_e32 v8, vcc, 1, v8
	v_addc_co_u32_e32 v9, vcc, 0, v9, vcc
	flat_store_dwordx2 v[22:23], v[8:9]
.LBB2_511:                              ;   in Loop: Header=BB2_313 Depth=1
	s_or_b64 exec, exec, s[18:19]
	v_mov_b32_e32 v2, v60
.LBB2_512:                              ;   in Loop: Header=BB2_313 Depth=1
	s_or_b64 exec, exec, s[46:47]
	s_and_saveexec_b64 s[46:47], s[44:45]
	s_cbranch_execz .LBB2_312
; %bb.513:                              ;   in Loop: Header=BB2_313 Depth=1
	v_and_b32_e32 v3, 4, v44
	v_cmp_ne_u32_e32 vcc, 0, v3
	s_and_saveexec_b64 s[44:45], vcc
	s_cbranch_execz .LBB2_535
; %bb.514:                              ;   in Loop: Header=BB2_313 Depth=1
	v_add_co_u32_e32 v10, vcc, 1, v8
	v_addc_co_u32_e32 v11, vcc, 0, v9, vcc
	s_waitcnt vmcnt(0)
	v_cmp_lt_u64_e32 vcc, v[28:29], v[10:11]
	s_and_saveexec_b64 s[56:57], vcc
	s_cbranch_execz .LBB2_526
; %bb.515:                              ;   in Loop: Header=BB2_313 Depth=1
	v_and_b32_e32 v3, 64, v44
	s_mov_b32 s92, 0
	v_cmp_eq_u32_e32 vcc, 0, v3
	s_mov_b64 s[58:59], 0
                                        ; implicit-def: $sgpr60_sgpr61
                                        ; implicit-def: $sgpr62_sgpr63
                                        ; implicit-def: $sgpr72_sgpr73
	s_branch .LBB2_519
.LBB2_516:                              ;   in Loop: Header=BB2_519 Depth=2
	s_waitcnt vmcnt(0) lgkmcnt(0)
	v_cmp_ge_u64_e64 s[18:19], v[28:29], v[10:11]
	s_or_b64 s[78:79], s[78:79], exec
	s_orn2_b64 s[76:77], s[18:19], exec
.LBB2_517:                              ;   in Loop: Header=BB2_519 Depth=2
	s_or_b64 exec, exec, s[90:91]
	s_andn2_b64 s[18:19], s[72:73], exec
	s_and_b64 s[72:73], s[78:79], exec
	s_or_b64 s[72:73], s[18:19], s[72:73]
	s_andn2_b64 s[18:19], s[62:63], exec
	s_and_b64 s[62:63], s[76:77], exec
	s_or_b64 s[62:63], s[18:19], s[62:63]
.LBB2_518:                              ;   in Loop: Header=BB2_519 Depth=2
	s_or_b64 exec, exec, s[74:75]
	s_and_b64 s[18:19], exec, s[62:63]
	s_or_b64 s[58:59], s[18:19], s[58:59]
	s_andn2_b64 s[18:19], s[60:61], exec
	s_and_b64 s[60:61], s[72:73], exec
	s_or_b64 s[60:61], s[18:19], s[60:61]
	s_andn2_b64 exec, exec, s[58:59]
	s_cbranch_execz .LBB2_523
.LBB2_519:                              ;   Parent Loop BB2_313 Depth=1
                                        ; =>  This Inner Loop Header: Depth=2
	s_sleep 1
	s_waitcnt vmcnt(0) lgkmcnt(0)
	flat_load_dwordx2 v[28:29], v[22:23] glc
	s_or_b64 s[72:73], s[72:73], exec
	s_or_b64 s[62:63], s[62:63], exec
                                        ; implicit-def: $vgpr3
	s_and_saveexec_b64 s[74:75], vcc
	s_cbranch_execz .LBB2_518
; %bb.520:                              ;   in Loop: Header=BB2_519 Depth=2
	s_cmpk_lt_i32 s92, 0x270f
	s_cselect_b64 s[88:89], -1, 0
	s_cmpk_gt_i32 s92, 0x270e
	s_mov_b64 s[76:77], -1
	s_cbranch_scc0 .LBB2_522
; %bb.521:                              ;   in Loop: Header=BB2_519 Depth=2
	s_trap 2
	ds_read_b64 v[12:13], v0
	s_andn2_b64 s[88:89], s[88:89], exec
	s_mov_b32 s92, 0
	s_mov_b64 s[78:79], 0
	s_waitcnt vmcnt(0) lgkmcnt(0)
	flat_load_dword v3, v[12:13] glc
	s_waitcnt vmcnt(0) lgkmcnt(0)
	buffer_wbinvl1_vol
	v_cmp_eq_u32_e64 s[18:19], 0, v3
	s_and_b64 s[18:19], s[18:19], exec
	s_or_b64 s[88:89], s[88:89], s[18:19]
	s_and_saveexec_b64 s[90:91], s[88:89]
	s_cbranch_execz .LBB2_517
	s_branch .LBB2_516
.LBB2_522:                              ;   in Loop: Header=BB2_519 Depth=2
	s_add_i32 s92, s92, 1
	s_mov_b64 s[78:79], -1
                                        ; implicit-def: $vgpr3
	s_and_saveexec_b64 s[90:91], s[88:89]
	s_cbranch_execz .LBB2_517
	s_branch .LBB2_516
.LBB2_523:                              ;   in Loop: Header=BB2_313 Depth=1
	s_or_b64 exec, exec, s[58:59]
	s_xor_b64 s[18:19], s[60:61], -1
	s_and_saveexec_b64 s[58:59], s[18:19]
	s_xor_b64 s[18:19], exec, s[58:59]
	s_cbranch_execz .LBB2_525
; %bb.524:                              ;   in Loop: Header=BB2_313 Depth=1
	v_or_b32_e32 v44, 64, v44
	s_waitcnt lgkmcnt(0)
	ds_write_b32 v0, v3
	s_trap 2
.LBB2_525:                              ;   in Loop: Header=BB2_313 Depth=1
	s_or_b64 exec, exec, s[18:19]
.LBB2_526:                              ;   in Loop: Header=BB2_313 Depth=1
	s_or_b64 exec, exec, s[56:57]
	v_and_b32_e32 v3, 0x100, v44
	v_cmp_ne_u32_e32 vcc, 0, v3
	v_and_b32_e32 v3, 7, v8
	s_mov_b64 s[18:19], -1
	;;#ASMSTART
	s_wakeup
	;;#ASMEND
                                        ; implicit-def: $vgpr8_vgpr9
	s_and_saveexec_b64 s[56:57], vcc
	s_cbranch_execz .LBB2_530
; %bb.527:                              ;   in Loop: Header=BB2_313 Depth=1
	v_mad_u64_u32 v[12:13], s[18:19], v3, 24, v[6:7]
	flat_load_dword v8, v[12:13]
	s_waitcnt vmcnt(0) lgkmcnt(0)
	v_cmp_ne_u32_e32 vcc, 1, v8
	v_cmp_eq_u32_e64 s[18:19], 1, v8
                                        ; implicit-def: $vgpr8_vgpr9
	s_and_saveexec_b64 s[58:59], s[18:19]
	s_cbranch_execz .LBB2_529
; %bb.528:                              ;   in Loop: Header=BB2_313 Depth=1
	flat_load_dword v8, v[12:13] offset:4 glc
	s_waitcnt vmcnt(0) lgkmcnt(0)
	v_ashrrev_i32_e32 v9, 31, v8
	v_lshrrev_b64 v[8:9], 1, v[8:9]
.LBB2_529:                              ;   in Loop: Header=BB2_313 Depth=1
	s_or_b64 exec, exec, s[58:59]
	s_orn2_b64 s[18:19], vcc, exec
.LBB2_530:                              ;   in Loop: Header=BB2_313 Depth=1
	s_or_b64 exec, exec, s[56:57]
	s_and_saveexec_b64 s[56:57], s[18:19]
; %bb.531:                              ;   in Loop: Header=BB2_313 Depth=1
	v_mad_i64_i32 v[8:9], s[18:19], v3, v45, 0
; %bb.532:                              ;   in Loop: Header=BB2_313 Depth=1
	s_or_b64 exec, exec, s[56:57]
	v_lshlrev_b64 v[8:9], 1, v[8:9]
	v_and_b32_e32 v3, 0x2000, v44
	v_add_co_u32_e32 v8, vcc, v24, v8
	v_addc_co_u32_e32 v9, vcc, v25, v9, vcc
	v_cmp_ne_u32_e32 vcc, 0, v3
	ds_write_b64 v0, v[8:9] offset:728
	s_and_saveexec_b64 s[18:19], vcc
	s_cbranch_execz .LBB2_534
; %bb.533:                              ;   in Loop: Header=BB2_313 Depth=1
	ds_read_b64 v[8:9], v0 offset:872
	s_waitcnt lgkmcnt(0)
	v_add_co_u32_e32 v8, vcc, 1, v8
	v_addc_co_u32_e32 v9, vcc, 0, v9, vcc
	ds_write_b64 v0, v[8:9] offset:872
.LBB2_534:                              ;   in Loop: Header=BB2_313 Depth=1
	s_or_b64 exec, exec, s[18:19]
	v_mov_b32_e32 v8, v10
	v_mov_b32_e32 v9, v11
.LBB2_535:                              ;   in Loop: Header=BB2_313 Depth=1
	s_or_b64 exec, exec, s[44:45]
	s_and_saveexec_b64 s[18:19], s[10:11]
	s_cbranch_execz .LBB2_554
; %bb.536:                              ;   in Loop: Header=BB2_313 Depth=1
	s_and_saveexec_b64 s[44:45], s[28:29]
	s_xor_b64 s[44:45], exec, s[44:45]
	s_cbranch_execz .LBB2_551
; %bb.537:                              ;   in Loop: Header=BB2_313 Depth=1
	s_and_saveexec_b64 s[56:57], s[12:13]
	s_cbranch_execz .LBB2_550
; %bb.538:                              ;   in Loop: Header=BB2_313 Depth=1
	s_mov_b64 s[60:61], exec
	v_mbcnt_lo_u32_b32 v3, s60, 0
	v_mbcnt_hi_u32_b32 v3, s61, v3
	v_cmp_eq_u32_e32 vcc, 0, v3
	s_waitcnt vmcnt(0) lgkmcnt(0)
	buffer_wbinvl1_vol
	s_and_saveexec_b64 s[58:59], vcc
	s_cbranch_execz .LBB2_540
; %bb.539:                              ;   in Loop: Header=BB2_313 Depth=1
	s_bcnt1_i32_b64 s60, s[60:61]
	v_mov_b32_e32 v34, s60
	ds_add_u64 v0, v[34:35]
	s_trap 2
.LBB2_540:                              ;   in Loop: Header=BB2_313 Depth=1
	s_or_b64 exec, exec, s[58:59]
	s_trap 2
	ds_read_b64 v[10:11], v0
	s_waitcnt lgkmcnt(0)
	v_add_co_u32_e32 v26, vcc, v26, v41
	v_addc_co_u32_e32 v27, vcc, 0, v27, vcc
	v_cmp_lt_u64_e32 vcc, v[10:11], v[26:27]
	s_and_saveexec_b64 s[58:59], vcc
	s_cbranch_execz .LBB2_549
; %bb.541:                              ;   in Loop: Header=BB2_313 Depth=1
	s_mov_b32 s88, 0
	s_mov_b64 s[60:61], 0
                                        ; implicit-def: $sgpr62_sgpr63
                                        ; implicit-def: $sgpr72_sgpr73
	s_branch .LBB2_543
.LBB2_542:                              ;   in Loop: Header=BB2_543 Depth=2
	s_or_b64 exec, exec, s[76:77]
	s_and_b64 s[74:75], exec, s[78:79]
	s_or_b64 s[60:61], s[74:75], s[60:61]
	s_andn2_b64 s[62:63], s[62:63], exec
	s_and_b64 s[74:75], s[72:73], exec
	s_or_b64 s[62:63], s[62:63], s[74:75]
	s_andn2_b64 exec, exec, s[60:61]
	s_cbranch_execz .LBB2_547
.LBB2_543:                              ;   Parent Loop BB2_313 Depth=1
                                        ; =>  This Inner Loop Header: Depth=2
	s_add_i32 s88, s88, 1
	s_cmpk_lg_i32 s88, 0x2710
	s_cselect_b64 s[74:75], -1, 0
	s_and_b64 vcc, exec, s[74:75]
	s_cbranch_vccz .LBB2_545
; %bb.544:                              ;   in Loop: Header=BB2_543 Depth=2
	s_mov_b64 s[78:79], -1
	s_or_b64 s[72:73], s[72:73], exec
	s_and_saveexec_b64 s[76:77], s[74:75]
	s_cbranch_execz .LBB2_542
	s_branch .LBB2_546
.LBB2_545:                              ;   in Loop: Header=BB2_543 Depth=2
	s_trap 2
	ds_read_b64 v[10:11], v0
	s_andn2_b64 s[74:75], s[74:75], exec
	s_mov_b32 s88, 0
	s_waitcnt lgkmcnt(0)
	flat_load_dword v3, v[10:11] glc
	s_waitcnt vmcnt(0) lgkmcnt(0)
	buffer_wbinvl1_vol
	v_cmp_eq_u32_e32 vcc, 0, v3
	s_and_b64 s[76:77], vcc, exec
	s_or_b64 s[74:75], s[74:75], s[76:77]
	s_mov_b64 s[78:79], -1
	s_or_b64 s[72:73], s[72:73], exec
	s_and_saveexec_b64 s[76:77], s[74:75]
	s_cbranch_execz .LBB2_542
.LBB2_546:                              ;   in Loop: Header=BB2_543 Depth=2
	s_sleep 1
	s_trap 2
	ds_read_b64 v[10:11], v0
	s_waitcnt lgkmcnt(0)
	s_andn2_b64 s[72:73], s[72:73], exec
	v_cmp_ge_u64_e32 vcc, v[10:11], v[26:27]
	s_orn2_b64 s[78:79], vcc, exec
	s_branch .LBB2_542
.LBB2_547:                              ;   in Loop: Header=BB2_313 Depth=1
	s_or_b64 exec, exec, s[60:61]
	s_and_saveexec_b64 s[60:61], s[62:63]
	s_xor_b64 s[60:61], exec, s[60:61]
	s_cbranch_execz .LBB2_549
; %bb.548:                              ;   in Loop: Header=BB2_313 Depth=1
	v_mov_b32_e32 v3, 1
	ds_write_b32 v0, v3
	s_trap 2
.LBB2_549:                              ;   in Loop: Header=BB2_313 Depth=1
	s_or_b64 exec, exec, s[58:59]
	;;#ASMSTART
	s_wakeup
	;;#ASMEND
.LBB2_550:                              ;   in Loop: Header=BB2_313 Depth=1
	s_or_b64 exec, exec, s[56:57]
.LBB2_551:                              ;   in Loop: Header=BB2_313 Depth=1
	s_andn2_saveexec_b64 s[44:45], s[44:45]
	s_cbranch_execz .LBB2_553
; %bb.552:                              ;   in Loop: Header=BB2_313 Depth=1
	s_waitcnt vmcnt(0) lgkmcnt(0)
	buffer_wbinvl1_vol
	s_barrier
.LBB2_553:                              ;   in Loop: Header=BB2_313 Depth=1
	s_or_b64 exec, exec, s[44:45]
.LBB2_554:                              ;   in Loop: Header=BB2_313 Depth=1
	s_or_b64 exec, exec, s[18:19]
	s_trap 2
	ds_read_b32 v3, v0
	v_sub_u32_e32 v2, v38, v2
	v_min_i32_e32 v2, v60, v2
	v_cmp_lt_i32_e32 vcc, 0, v2
	v_and_b32_e32 v2, 16, v44
	s_waitcnt lgkmcnt(0)
	v_readfirstlane_b32 s18, v3
	s_cmp_eq_u32 s18, 0
	s_cselect_b64 s[18:19], -1, 0
	s_and_b64 s[18:19], vcc, s[18:19]
	v_cmp_ne_u32_e32 vcc, 0, v2
	s_and_b64 s[44:45], vcc, s[18:19]
	s_and_saveexec_b64 s[18:19], s[44:45]
	s_cbranch_execz .LBB2_556
; %bb.555:                              ;   in Loop: Header=BB2_313 Depth=1
	s_waitcnt vmcnt(0)
	buffer_wbinvl1_vol
.LBB2_556:                              ;   in Loop: Header=BB2_313 Depth=1
	s_or_b64 exec, exec, s[18:19]
	v_and_b32_e32 v2, 32, v44
	v_cmp_ne_u32_e32 vcc, 0, v2
	s_and_saveexec_b64 s[18:19], vcc
	s_cbranch_execz .LBB2_311
; %bb.557:                              ;   in Loop: Header=BB2_313 Depth=1
	v_add_co_u32_e32 v8, vcc, 1, v8
	v_addc_co_u32_e32 v9, vcc, 0, v9, vcc
	flat_store_dwordx2 v[22:23], v[8:9]
	s_branch .LBB2_311
.LBB2_558:
	s_or_b64 exec, exec, s[40:41]
	buffer_load_dword v31, off, s[0:3], s33 offset:60 ; 4-byte Folded Reload
	buffer_load_dword v30, off, s[0:3], s33 offset:64 ; 4-byte Folded Reload
.LBB2_559:
	s_or_b64 exec, exec, s[26:27]
.LBB2_560:
	s_or_b64 exec, exec, s[20:21]
                                        ; implicit-def: $vgpr18_vgpr19
                                        ; implicit-def: $vgpr4_vgpr5
                                        ; implicit-def: $vgpr34_vgpr35
                                        ; implicit-def: $vgpr45
                                        ; implicit-def: $vgpr28_vgpr29
                                        ; implicit-def: $vgpr24_vgpr25
                                        ; implicit-def: $vgpr22_vgpr23
                                        ; implicit-def: $vgpr0
                                        ; implicit-def: $vgpr38
                                        ; implicit-def: $vgpr32
.LBB2_561:
	s_andn2_saveexec_b64 s[24:25], s[24:25]
	s_cbranch_execz .LBB2_735
; %bb.562:
	v_mov_b32_e32 v26, 0
	v_cmp_ne_u64_e32 vcc, 0, v[4:5]
	v_mov_b32_e32 v27, 0
	s_and_saveexec_b64 s[26:27], vcc
	s_cbranch_execz .LBB2_734
; %bb.563:
	v_ashrrev_i32_e32 v3, 31, v0
	v_lshrrev_b32_e32 v3, 26, v3
	v_add_u32_e32 v10, v0, v3
	v_and_b32_e32 v3, 0xffffffc0, v10
	v_ashrrev_i32_e32 v52, 6, v10
	s_lshr_b32 s6, s30, 27
	s_waitcnt vmcnt(0)
	v_and_b32_e32 v2, 63, v31
	v_sub_u32_e32 v3, v0, v3
	v_lshlrev_b32_e32 v10, 11, v52
	s_add_i32 s30, s30, s6
	v_cmp_eq_u32_e32 vcc, 64, v1
	v_cmp_eq_u32_e64 s[12:13], 0, v2
	v_lshrrev_b32_e32 v2, 6, v1
	v_lshl_add_u32 v12, v3, 4, v10
	v_lshlrev_b32_e32 v10, 1, v1
	s_waitcnt lgkmcnt(0)
	v_cmp_ne_u64_e64 s[18:19], 0, v[34:35]
	v_mov_b32_e32 v14, 0
	v_mov_b32_e32 v26, 0
	s_ashr_i32 s94, s30, 5
	v_cmp_ge_i32_e64 s[6:7], v0, v1
	v_cmp_ne_u32_e64 s[10:11], 64, v1
	v_cmp_ne_u32_sdwa s[28:29], v1, v30 src0_sel:DWORD src1_sel:WORD_0
	v_mov_b32_e32 v11, 0
	v_cmp_gt_i32_e64 s[14:15], 1, v3
	v_cmp_lt_i32_e64 s[16:17], v3, v38
	v_ashrrev_i32_e32 v13, 31, v12
	v_lshlrev_b32_e32 v53, 10, v2
	v_lshlrev_b32_e32 v54, 9, v2
	v_and_b32_e32 v55, 0x7f80, v10
	s_mov_b64 s[40:41], 0
	v_mov_b32_e32 v15, 0
	v_mov_b32_e32 v27, 0
	;; [unrolled: 1-line block ×3, first 2 shown]
	s_xor_b64 s[42:43], vcc, -1
	s_trap 2
	buffer_store_dword v30, off, s[0:3], s33 offset:64 ; 4-byte Folded Spill
	buffer_store_dword v31, off, s[0:3], s33 offset:60 ; 4-byte Folded Spill
	s_branch .LBB2_567
.LBB2_564:                              ;   in Loop: Header=BB2_567 Depth=1
	s_or_b64 exec, exec, s[44:45]
	v_add_co_u32_e32 v8, vcc, 1, v8
	v_addc_co_u32_e32 v9, vcc, 0, v9, vcc
	flat_store_dwordx2 v[22:23], v[8:9]
.LBB2_565:                              ;   in Loop: Header=BB2_567 Depth=1
	s_or_b64 exec, exec, s[20:21]
.LBB2_566:                              ;   in Loop: Header=BB2_567 Depth=1
	s_or_b64 exec, exec, s[46:47]
	v_add_co_u32_e32 v14, vcc, v14, v32
	v_addc_co_u32_e32 v15, vcc, 0, v15, vcc
	v_cmp_ge_u64_e32 vcc, v[14:15], v[4:5]
	s_or_b64 s[40:41], vcc, s[40:41]
	s_andn2_b64 exec, exec, s[40:41]
	s_cbranch_execz .LBB2_733
.LBB2_567:                              ; =>This Loop Header: Depth=1
                                        ;     Child Loop BB2_576 Depth 2
                                        ;     Child Loop BB2_600 Depth 2
                                        ;     Child Loop BB2_619 Depth 2
                                        ;     Child Loop BB2_641 Depth 2
                                        ;     Child Loop BB2_646 Depth 2
                                        ;     Child Loop BB2_654 Depth 2
                                        ;     Child Loop BB2_659 Depth 2
                                        ;     Child Loop BB2_668 Depth 2
                                        ;     Child Loop BB2_693 Depth 2
                                        ;     Child Loop BB2_717 Depth 2
	v_sub_co_u32_e32 v16, vcc, v4, v14
	v_subb_co_u32_e32 v17, vcc, v5, v15, vcc
	v_cmp_lt_u64_e32 vcc, v[32:33], v[16:17]
	v_cndmask_b32_e64 v17, v17, 0, vcc
	v_cndmask_b32_e32 v16, v16, v32, vcc
	v_cmp_eq_u64_e32 vcc, 0, v[16:17]
	v_add_u32_e32 v10, 15, v16
	v_and_b32_e32 v10, 0x3ffffff0, v10
	s_or_b64 s[44:45], s[6:7], vcc
	v_max_i32_e32 v17, s94, v10
	s_xor_b64 s[20:21], s[44:45], -1
	v_mov_b32_e32 v10, 0
	s_and_saveexec_b64 s[46:47], s[20:21]
	s_cbranch_execz .LBB2_686
; %bb.568:                              ;   in Loop: Header=BB2_567 Depth=1
	s_and_saveexec_b64 s[20:21], s[4:5]
	s_cbranch_execz .LBB2_570
; %bb.569:                              ;   in Loop: Header=BB2_567 Depth=1
	s_trap 2
	ds_read_b64 v[30:31], v0
	v_lshlrev_b64 v[36:37], 1, v[18:19]
	s_waitcnt lgkmcnt(0)
	v_add_co_u32_e32 v10, vcc, v30, v36
	v_addc_co_u32_e32 v36, vcc, v31, v37, vcc
	v_lshlrev_b64 v[30:31], 1, v[14:15]
	v_add_co_u32_e32 v30, vcc, v10, v30
	v_addc_co_u32_e32 v31, vcc, v36, v31, vcc
	v_mov_b32_e32 v10, v11
	ds_write_b64 v0, v[30:31]
	ds_write_b64 v0, v[10:11]
.LBB2_570:                              ;   in Loop: Header=BB2_567 Depth=1
	s_or_b64 exec, exec, s[20:21]
	v_and_b32_e32 v10, 8, v44
	v_min_u32_e32 v17, v17, v16
	v_cmp_ne_u32_e32 vcc, 0, v10
	s_and_saveexec_b64 s[56:57], vcc
	s_cbranch_execz .LBB2_592
; %bb.571:                              ;   in Loop: Header=BB2_567 Depth=1
	s_waitcnt vmcnt(0)
	v_add_co_u32_e32 v30, vcc, 8, v28
	v_addc_co_u32_e32 v31, vcc, 0, v29, vcc
	v_add_co_u32_e32 v36, vcc, 1, v8
	v_addc_co_u32_e32 v37, vcc, 0, v9, vcc
	v_cmp_lt_u64_e32 vcc, v[30:31], v[36:37]
	s_and_saveexec_b64 s[58:59], vcc
	s_cbranch_execz .LBB2_583
; %bb.572:                              ;   in Loop: Header=BB2_567 Depth=1
	v_and_b32_e32 v9, 64, v44
	s_mov_b32 s95, 0
	v_cmp_eq_u32_e32 vcc, 0, v9
	s_mov_b64 s[60:61], 0
                                        ; implicit-def: $sgpr62_sgpr63
                                        ; implicit-def: $sgpr72_sgpr73
                                        ; implicit-def: $sgpr74_sgpr75
	s_branch .LBB2_576
.LBB2_573:                              ;   in Loop: Header=BB2_576 Depth=2
	s_waitcnt vmcnt(0) lgkmcnt(0)
	v_add_co_u32_e64 v30, s[20:21], 8, v28
	v_addc_co_u32_e64 v31, s[20:21], 0, v29, s[20:21]
	v_cmp_ge_u64_e64 s[20:21], v[30:31], v[36:37]
	s_or_b64 s[88:89], s[88:89], exec
	s_orn2_b64 s[78:79], s[20:21], exec
.LBB2_574:                              ;   in Loop: Header=BB2_576 Depth=2
	s_or_b64 exec, exec, s[92:93]
	s_andn2_b64 s[20:21], s[74:75], exec
	s_and_b64 s[74:75], s[88:89], exec
	s_or_b64 s[74:75], s[20:21], s[74:75]
	s_andn2_b64 s[20:21], s[72:73], exec
	s_and_b64 s[72:73], s[78:79], exec
	s_or_b64 s[72:73], s[20:21], s[72:73]
.LBB2_575:                              ;   in Loop: Header=BB2_576 Depth=2
	s_or_b64 exec, exec, s[76:77]
	s_and_b64 s[20:21], exec, s[72:73]
	s_or_b64 s[60:61], s[20:21], s[60:61]
	s_andn2_b64 s[20:21], s[62:63], exec
	s_and_b64 s[62:63], s[74:75], exec
	s_or_b64 s[62:63], s[20:21], s[62:63]
	s_andn2_b64 exec, exec, s[60:61]
	s_cbranch_execz .LBB2_580
.LBB2_576:                              ;   Parent Loop BB2_567 Depth=1
                                        ; =>  This Inner Loop Header: Depth=2
	s_sleep 1
	s_waitcnt vmcnt(0) lgkmcnt(0)
	flat_load_dwordx2 v[28:29], v[22:23] glc
	s_or_b64 s[74:75], s[74:75], exec
	s_or_b64 s[72:73], s[72:73], exec
                                        ; implicit-def: $vgpr9
	s_and_saveexec_b64 s[76:77], vcc
	s_cbranch_execz .LBB2_575
; %bb.577:                              ;   in Loop: Header=BB2_576 Depth=2
	s_cmpk_lt_i32 s95, 0x270f
	s_cselect_b64 s[90:91], -1, 0
	s_cmpk_gt_i32 s95, 0x270e
	s_mov_b64 s[78:79], -1
	s_cbranch_scc0 .LBB2_579
; %bb.578:                              ;   in Loop: Header=BB2_576 Depth=2
	s_trap 2
	ds_read_b64 v[9:10], v0
	s_andn2_b64 s[90:91], s[90:91], exec
	s_mov_b32 s95, 0
	s_mov_b64 s[88:89], 0
	s_waitcnt vmcnt(0) lgkmcnt(0)
	flat_load_dword v9, v[9:10] glc
	s_waitcnt vmcnt(0) lgkmcnt(0)
	buffer_wbinvl1_vol
	v_cmp_eq_u32_e64 s[20:21], 0, v9
	s_and_b64 s[20:21], s[20:21], exec
	s_or_b64 s[90:91], s[90:91], s[20:21]
	s_and_saveexec_b64 s[92:93], s[90:91]
	s_cbranch_execz .LBB2_574
	s_branch .LBB2_573
.LBB2_579:                              ;   in Loop: Header=BB2_576 Depth=2
	s_add_i32 s95, s95, 1
	s_mov_b64 s[88:89], -1
                                        ; implicit-def: $vgpr9
	s_and_saveexec_b64 s[92:93], s[90:91]
	s_cbranch_execz .LBB2_574
	s_branch .LBB2_573
.LBB2_580:                              ;   in Loop: Header=BB2_567 Depth=1
	s_or_b64 exec, exec, s[60:61]
	s_xor_b64 s[20:21], s[62:63], -1
	s_and_saveexec_b64 s[60:61], s[20:21]
	s_xor_b64 s[20:21], exec, s[60:61]
	s_cbranch_execz .LBB2_582
; %bb.581:                              ;   in Loop: Header=BB2_567 Depth=1
	v_or_b32_e32 v44, 64, v44
	s_waitcnt lgkmcnt(0)
	ds_write_b32 v0, v9
	s_trap 2
.LBB2_582:                              ;   in Loop: Header=BB2_567 Depth=1
	s_or_b64 exec, exec, s[20:21]
.LBB2_583:                              ;   in Loop: Header=BB2_567 Depth=1
	s_or_b64 exec, exec, s[58:59]
	v_and_b32_e32 v9, 0x100, v44
	v_cmp_ne_u32_e32 vcc, 0, v9
	v_and_b32_e32 v30, 7, v8
	s_mov_b64 s[20:21], -1
	;;#ASMSTART
	s_wakeup
	;;#ASMEND
                                        ; implicit-def: $vgpr8_vgpr9
	s_and_saveexec_b64 s[58:59], vcc
	s_cbranch_execz .LBB2_587
; %bb.584:                              ;   in Loop: Header=BB2_567 Depth=1
	v_mad_u64_u32 v[38:39], s[20:21], v30, 24, v[6:7]
	v_lshlrev_b32_e32 v10, 1, v17
	flat_load_dword v8, v[38:39]
	s_nop 0
	flat_store_dwordx2 v[38:39], v[10:11] offset:8
	s_waitcnt vmcnt(0) lgkmcnt(0)
	v_cmp_ne_u32_e32 vcc, 1, v8
	v_cmp_eq_u32_e64 s[20:21], 1, v8
                                        ; implicit-def: $vgpr8_vgpr9
	s_and_saveexec_b64 s[60:61], s[20:21]
	s_cbranch_execz .LBB2_586
; %bb.585:                              ;   in Loop: Header=BB2_567 Depth=1
	flat_load_dword v8, v[38:39] offset:4 glc
	s_waitcnt vmcnt(0) lgkmcnt(0)
	v_ashrrev_i32_e32 v9, 31, v8
	v_lshrrev_b64 v[8:9], 1, v[8:9]
.LBB2_586:                              ;   in Loop: Header=BB2_567 Depth=1
	s_or_b64 exec, exec, s[60:61]
	s_orn2_b64 s[20:21], vcc, exec
.LBB2_587:                              ;   in Loop: Header=BB2_567 Depth=1
	s_or_b64 exec, exec, s[58:59]
	s_and_saveexec_b64 s[58:59], s[20:21]
; %bb.588:                              ;   in Loop: Header=BB2_567 Depth=1
	v_mad_i64_i32 v[8:9], s[20:21], v30, v45, 0
; %bb.589:                              ;   in Loop: Header=BB2_567 Depth=1
	s_or_b64 exec, exec, s[58:59]
	v_lshlrev_b64 v[8:9], 1, v[8:9]
	v_add_co_u32_e32 v8, vcc, v24, v8
	v_addc_co_u32_e32 v9, vcc, v25, v9, vcc
	ds_write_b64 v0, v[8:9] offset:784
	v_and_b32_e32 v8, 0x2000, v44
	v_cmp_ne_u32_e32 vcc, 0, v8
	s_and_saveexec_b64 s[20:21], vcc
	s_cbranch_execz .LBB2_591
; %bb.590:                              ;   in Loop: Header=BB2_567 Depth=1
	ds_read_b64 v[8:9], v0 offset:872
	s_waitcnt lgkmcnt(0)
	v_add_co_u32_e32 v8, vcc, 1, v8
	v_addc_co_u32_e32 v9, vcc, 0, v9, vcc
	ds_write_b64 v0, v[8:9] offset:872
.LBB2_591:                              ;   in Loop: Header=BB2_567 Depth=1
	s_or_b64 exec, exec, s[20:21]
	v_mov_b32_e32 v8, v36
	v_mov_b32_e32 v9, v37
.LBB2_592:                              ;   in Loop: Header=BB2_567 Depth=1
	s_or_b64 exec, exec, s[56:57]
	s_and_saveexec_b64 s[20:21], s[10:11]
	s_cbranch_execz .LBB2_611
; %bb.593:                              ;   in Loop: Header=BB2_567 Depth=1
	s_and_saveexec_b64 s[56:57], s[28:29]
	s_xor_b64 s[56:57], exec, s[56:57]
	s_cbranch_execz .LBB2_608
; %bb.594:                              ;   in Loop: Header=BB2_567 Depth=1
	s_and_saveexec_b64 s[58:59], s[12:13]
	s_cbranch_execz .LBB2_607
; %bb.595:                              ;   in Loop: Header=BB2_567 Depth=1
	s_mov_b64 s[62:63], exec
	v_mbcnt_lo_u32_b32 v10, s62, 0
	v_mbcnt_hi_u32_b32 v10, s63, v10
	v_cmp_eq_u32_e32 vcc, 0, v10
	s_waitcnt vmcnt(0) lgkmcnt(0)
	buffer_wbinvl1_vol
	s_and_saveexec_b64 s[60:61], vcc
	s_cbranch_execz .LBB2_597
; %bb.596:                              ;   in Loop: Header=BB2_567 Depth=1
	s_bcnt1_i32_b64 s62, s[62:63]
	v_mov_b32_e32 v10, s62
	ds_add_u64 v0, v[10:11]
	s_trap 2
.LBB2_597:                              ;   in Loop: Header=BB2_567 Depth=1
	s_or_b64 exec, exec, s[60:61]
	s_trap 2
	ds_read_b64 v[30:31], v0
	s_waitcnt lgkmcnt(0)
	v_add_co_u32_e32 v26, vcc, v26, v2
	v_addc_co_u32_e32 v27, vcc, 0, v27, vcc
	v_cmp_lt_u64_e32 vcc, v[30:31], v[26:27]
	s_and_saveexec_b64 s[60:61], vcc
	s_cbranch_execz .LBB2_606
; %bb.598:                              ;   in Loop: Header=BB2_567 Depth=1
	s_mov_b32 s90, 0
	s_mov_b64 s[62:63], 0
                                        ; implicit-def: $sgpr72_sgpr73
                                        ; implicit-def: $sgpr74_sgpr75
	s_branch .LBB2_600
.LBB2_599:                              ;   in Loop: Header=BB2_600 Depth=2
	s_or_b64 exec, exec, s[78:79]
	s_and_b64 s[76:77], exec, s[88:89]
	s_or_b64 s[62:63], s[76:77], s[62:63]
	s_andn2_b64 s[72:73], s[72:73], exec
	s_and_b64 s[76:77], s[74:75], exec
	s_or_b64 s[72:73], s[72:73], s[76:77]
	s_andn2_b64 exec, exec, s[62:63]
	s_cbranch_execz .LBB2_604
.LBB2_600:                              ;   Parent Loop BB2_567 Depth=1
                                        ; =>  This Inner Loop Header: Depth=2
	s_add_i32 s90, s90, 1
	s_cmpk_lg_i32 s90, 0x2710
	s_cselect_b64 s[76:77], -1, 0
	s_and_b64 vcc, exec, s[76:77]
	s_cbranch_vccz .LBB2_602
; %bb.601:                              ;   in Loop: Header=BB2_600 Depth=2
	s_mov_b64 s[88:89], -1
	s_or_b64 s[74:75], s[74:75], exec
	s_and_saveexec_b64 s[78:79], s[76:77]
	s_cbranch_execz .LBB2_599
	s_branch .LBB2_603
.LBB2_602:                              ;   in Loop: Header=BB2_600 Depth=2
	s_trap 2
	ds_read_b64 v[30:31], v0
	s_andn2_b64 s[76:77], s[76:77], exec
	s_mov_b32 s90, 0
	s_waitcnt lgkmcnt(0)
	flat_load_dword v10, v[30:31] glc
	s_waitcnt vmcnt(0) lgkmcnt(0)
	buffer_wbinvl1_vol
	v_cmp_eq_u32_e32 vcc, 0, v10
	s_and_b64 s[78:79], vcc, exec
	s_or_b64 s[76:77], s[76:77], s[78:79]
	s_mov_b64 s[88:89], -1
	s_or_b64 s[74:75], s[74:75], exec
	s_and_saveexec_b64 s[78:79], s[76:77]
	s_cbranch_execz .LBB2_599
.LBB2_603:                              ;   in Loop: Header=BB2_600 Depth=2
	s_sleep 1
	s_trap 2
	ds_read_b64 v[30:31], v0
	s_waitcnt lgkmcnt(0)
	s_andn2_b64 s[74:75], s[74:75], exec
	v_cmp_ge_u64_e32 vcc, v[30:31], v[26:27]
	s_orn2_b64 s[88:89], vcc, exec
	s_branch .LBB2_599
.LBB2_604:                              ;   in Loop: Header=BB2_567 Depth=1
	s_or_b64 exec, exec, s[62:63]
	s_and_saveexec_b64 s[62:63], s[72:73]
	s_xor_b64 s[62:63], exec, s[62:63]
	s_cbranch_execz .LBB2_606
; %bb.605:                              ;   in Loop: Header=BB2_567 Depth=1
	ds_write_b32 v0, v60
	s_trap 2
.LBB2_606:                              ;   in Loop: Header=BB2_567 Depth=1
	s_or_b64 exec, exec, s[60:61]
	;;#ASMSTART
	s_wakeup
	;;#ASMEND
.LBB2_607:                              ;   in Loop: Header=BB2_567 Depth=1
	s_or_b64 exec, exec, s[58:59]
.LBB2_608:                              ;   in Loop: Header=BB2_567 Depth=1
	s_andn2_saveexec_b64 s[56:57], s[56:57]
	s_cbranch_execz .LBB2_610
; %bb.609:                              ;   in Loop: Header=BB2_567 Depth=1
	s_waitcnt vmcnt(0) lgkmcnt(0)
	buffer_wbinvl1_vol
	s_barrier
.LBB2_610:                              ;   in Loop: Header=BB2_567 Depth=1
	s_or_b64 exec, exec, s[56:57]
.LBB2_611:                              ;   in Loop: Header=BB2_567 Depth=1
	s_or_b64 exec, exec, s[20:21]
	s_trap 2
	ds_read_b32 v30, v0
	v_and_b32_e32 v10, 0x4000, v44
	v_cmp_ne_u32_e32 vcc, 0, v10
	s_and_b64 s[56:57], s[42:43], vcc
	s_and_saveexec_b64 s[20:21], s[56:57]
	s_cbranch_execz .LBB2_630
; %bb.612:                              ;   in Loop: Header=BB2_567 Depth=1
	s_and_saveexec_b64 s[56:57], s[28:29]
	s_xor_b64 s[56:57], exec, s[56:57]
	s_cbranch_execz .LBB2_627
; %bb.613:                              ;   in Loop: Header=BB2_567 Depth=1
	s_and_saveexec_b64 s[58:59], s[12:13]
	s_cbranch_execz .LBB2_626
; %bb.614:                              ;   in Loop: Header=BB2_567 Depth=1
	s_mov_b64 s[62:63], exec
	v_mbcnt_lo_u32_b32 v10, s62, 0
	v_mbcnt_hi_u32_b32 v10, s63, v10
	v_cmp_eq_u32_e32 vcc, 0, v10
	s_waitcnt vmcnt(0) lgkmcnt(0)
	buffer_wbinvl1_vol
	s_and_saveexec_b64 s[60:61], vcc
	s_cbranch_execz .LBB2_616
; %bb.615:                              ;   in Loop: Header=BB2_567 Depth=1
	s_bcnt1_i32_b64 s62, s[62:63]
	v_mov_b32_e32 v10, s62
	ds_add_u64 v0, v[10:11]
	s_trap 2
.LBB2_616:                              ;   in Loop: Header=BB2_567 Depth=1
	s_or_b64 exec, exec, s[60:61]
	s_trap 2
	ds_read_b64 v[36:37], v0
	s_waitcnt lgkmcnt(0)
	v_add_co_u32_e32 v26, vcc, v26, v2
	v_addc_co_u32_e32 v27, vcc, 0, v27, vcc
	v_cmp_lt_u64_e32 vcc, v[36:37], v[26:27]
	s_and_saveexec_b64 s[60:61], vcc
	s_cbranch_execz .LBB2_625
; %bb.617:                              ;   in Loop: Header=BB2_567 Depth=1
	s_mov_b32 s90, 0
	s_mov_b64 s[62:63], 0
                                        ; implicit-def: $sgpr72_sgpr73
                                        ; implicit-def: $sgpr74_sgpr75
	s_branch .LBB2_619
.LBB2_618:                              ;   in Loop: Header=BB2_619 Depth=2
	s_or_b64 exec, exec, s[78:79]
	s_and_b64 s[76:77], exec, s[88:89]
	s_or_b64 s[62:63], s[76:77], s[62:63]
	s_andn2_b64 s[72:73], s[72:73], exec
	s_and_b64 s[76:77], s[74:75], exec
	s_or_b64 s[72:73], s[72:73], s[76:77]
	s_andn2_b64 exec, exec, s[62:63]
	s_cbranch_execz .LBB2_623
.LBB2_619:                              ;   Parent Loop BB2_567 Depth=1
                                        ; =>  This Inner Loop Header: Depth=2
	s_add_i32 s90, s90, 1
	s_cmpk_lg_i32 s90, 0x2710
	s_cselect_b64 s[76:77], -1, 0
	s_and_b64 vcc, exec, s[76:77]
	s_cbranch_vccz .LBB2_621
; %bb.620:                              ;   in Loop: Header=BB2_619 Depth=2
	s_mov_b64 s[88:89], -1
	s_or_b64 s[74:75], s[74:75], exec
	s_and_saveexec_b64 s[78:79], s[76:77]
	s_cbranch_execz .LBB2_618
	s_branch .LBB2_622
.LBB2_621:                              ;   in Loop: Header=BB2_619 Depth=2
	s_trap 2
	ds_read_b64 v[36:37], v0
	s_andn2_b64 s[76:77], s[76:77], exec
	s_mov_b32 s90, 0
	s_waitcnt lgkmcnt(0)
	flat_load_dword v10, v[36:37] glc
	s_waitcnt vmcnt(0) lgkmcnt(0)
	buffer_wbinvl1_vol
	v_cmp_eq_u32_e32 vcc, 0, v10
	s_and_b64 s[78:79], vcc, exec
	s_or_b64 s[76:77], s[76:77], s[78:79]
	s_mov_b64 s[88:89], -1
	s_or_b64 s[74:75], s[74:75], exec
	s_and_saveexec_b64 s[78:79], s[76:77]
	s_cbranch_execz .LBB2_618
.LBB2_622:                              ;   in Loop: Header=BB2_619 Depth=2
	s_sleep 1
	s_trap 2
	ds_read_b64 v[36:37], v0
	s_waitcnt lgkmcnt(0)
	s_andn2_b64 s[74:75], s[74:75], exec
	v_cmp_ge_u64_e32 vcc, v[36:37], v[26:27]
	s_orn2_b64 s[88:89], vcc, exec
	s_branch .LBB2_618
.LBB2_623:                              ;   in Loop: Header=BB2_567 Depth=1
	s_or_b64 exec, exec, s[62:63]
	s_and_saveexec_b64 s[62:63], s[72:73]
	s_xor_b64 s[62:63], exec, s[62:63]
	s_cbranch_execz .LBB2_625
; %bb.624:                              ;   in Loop: Header=BB2_567 Depth=1
	ds_write_b32 v0, v60
	s_trap 2
.LBB2_625:                              ;   in Loop: Header=BB2_567 Depth=1
	s_or_b64 exec, exec, s[60:61]
	;;#ASMSTART
	s_wakeup
	;;#ASMEND
.LBB2_626:                              ;   in Loop: Header=BB2_567 Depth=1
	s_or_b64 exec, exec, s[58:59]
.LBB2_627:                              ;   in Loop: Header=BB2_567 Depth=1
	s_andn2_saveexec_b64 s[56:57], s[56:57]
	s_cbranch_execz .LBB2_629
; %bb.628:                              ;   in Loop: Header=BB2_567 Depth=1
	s_waitcnt vmcnt(0) lgkmcnt(0)
	buffer_wbinvl1_vol
	s_barrier
.LBB2_629:                              ;   in Loop: Header=BB2_567 Depth=1
	s_or_b64 exec, exec, s[56:57]
.LBB2_630:                              ;   in Loop: Header=BB2_567 Depth=1
	s_or_b64 exec, exec, s[20:21]
	s_trap 2
	ds_read_b64 v[36:37], v0
	s_waitcnt lgkmcnt(0)
	v_cmp_eq_u64_e32 vcc, 0, v[36:37]
	s_cbranch_vccnz .LBB2_638
; %bb.631:                              ;   in Loop: Header=BB2_567 Depth=1
	s_trap 2
	ds_read_b64 v[38:39], v0
	s_waitcnt lgkmcnt(0)
	v_cmp_eq_u64_e32 vcc, 0, v[38:39]
	s_cbranch_vccnz .LBB2_638
; %bb.632:                              ;   in Loop: Header=BB2_567 Depth=1
	s_mov_b64 s[20:21], -1
	s_and_saveexec_b64 s[56:57], s[14:15]
	s_cbranch_execz .LBB2_634
; %bb.633:                              ;   in Loop: Header=BB2_567 Depth=1
	ds_read_b32 v10, v0 offset:720
	s_waitcnt lgkmcnt(0)
	v_and_b32_e32 v10, 15, v10
	v_cmp_eq_u32_e32 vcc, 0, v10
	s_orn2_b64 s[20:21], vcc, exec
.LBB2_634:                              ;   in Loop: Header=BB2_567 Depth=1
	s_or_b64 exec, exec, s[56:57]
	s_and_saveexec_b64 s[56:57], s[16:17]
	s_cbranch_execz .LBB2_636
; %bb.635:                              ;   in Loop: Header=BB2_567 Depth=1
	ds_read_b32 v10, v0 offset:784
	s_waitcnt lgkmcnt(0)
	v_and_b32_e32 v10, 15, v10
	v_cmp_eq_u32_e32 vcc, 0, v10
	s_and_b64 s[58:59], s[20:21], vcc
	s_andn2_b64 s[20:21], s[20:21], exec
	s_and_b64 s[58:59], s[58:59], exec
	s_or_b64 s[20:21], s[20:21], s[58:59]
.LBB2_636:                              ;   in Loop: Header=BB2_567 Depth=1
	s_or_b64 exec, exec, s[56:57]
	v_cmp_eq_u32_e32 vcc, 0, v30
	s_xor_b64 s[20:21], s[20:21], -1
	v_cndmask_b32_e32 v10, 0, v17, vcc
	v_cndmask_b32_e64 v31, 0, 1, s[20:21]
	v_lshlrev_b32_e32 v30, 1, v10
	s_mov_b64 s[58:59], -1
	v_cmp_ne_u32_e32 vcc, 0, v31
	v_mov_b32_e32 v31, 0
	s_cbranch_vccz .LBB2_639
; %bb.637:                              ;   in Loop: Header=BB2_567 Depth=1
	v_mov_b32_e32 v41, v0
	v_mov_b32_e32 v47, v52
	s_and_saveexec_b64 s[20:21], s[58:59]
	s_cbranch_execnz .LBB2_652
	s_branch .LBB2_660
.LBB2_638:                              ;   in Loop: Header=BB2_567 Depth=1
	s_mov_b64 s[20:21], 0
	s_and_saveexec_b64 s[56:57], s[10:11]
	s_cbranch_execnz .LBB2_661
	s_branch .LBB2_679
.LBB2_639:                              ;   in Loop: Header=BB2_567 Depth=1
	v_lshrrev_b32_e32 v31, 10, v10
	v_sub_u32_e32 v50, v31, v52
	v_cmp_lt_i32_e32 vcc, 0, v50
	s_and_saveexec_b64 s[20:21], vcc
	s_cbranch_execz .LBB2_643
; %bb.640:                              ;   in Loop: Header=BB2_567 Depth=1
	v_mov_b32_e32 v49, v13
	s_mov_b64 s[56:57], 0
	v_mov_b32_e32 v48, v12
.LBB2_641:                              ;   Parent Loop BB2_567 Depth=1
                                        ; =>  This Inner Loop Header: Depth=2
	v_add_co_u32_e32 v40, vcc, v36, v48
	v_addc_co_u32_e32 v41, vcc, v37, v49, vcc
	global_load_dwordx4 v[56:59], v[40:41], off glc slc
	s_nop 0
	global_load_dwordx4 v[40:43], v[40:41], off offset:1024 glc slc
	v_add_co_u32_e32 v46, vcc, v38, v48
	v_addc_co_u32_e32 v47, vcc, v39, v49, vcc
	v_lshlrev_b32_e32 v51, 11, v2
	v_add_co_u32_e32 v48, vcc, v48, v51
	v_sub_u32_e32 v50, v50, v2
	v_addc_co_u32_e32 v49, vcc, 0, v49, vcc
	v_cmp_gt_i32_e32 vcc, 1, v50
	s_or_b64 s[56:57], vcc, s[56:57]
	s_waitcnt vmcnt(0)
	global_store_dwordx4 v[46:47], v[56:59], off glc slc
	global_store_dwordx4 v[46:47], v[40:43], off offset:1024 glc slc
	s_andn2_b64 exec, exec, s[56:57]
	s_cbranch_execnz .LBB2_641
; %bb.642:                              ;   in Loop: Header=BB2_567 Depth=1
	s_or_b64 exec, exec, s[56:57]
.LBB2_643:                              ;   in Loop: Header=BB2_567 Depth=1
	s_or_b64 exec, exec, s[20:21]
	v_lshlrev_b32_e32 v48, 11, v31
	v_cmp_ne_u32_e32 vcc, v30, v48
	s_mov_b64 s[58:59], 0
	v_mov_b32_e32 v31, 0
                                        ; implicit-def: $vgpr41
                                        ; implicit-def: $vgpr47
	s_and_saveexec_b64 s[56:57], vcc
	s_cbranch_execz .LBB2_651
; %bb.644:                              ;   in Loop: Header=BB2_567 Depth=1
	v_lshlrev_b32_e32 v31, 6, v50
	v_sub_u32_e32 v31, v3, v31
	v_sub_u32_e32 v51, v30, v48
	v_ashrrev_i32_e32 v49, 31, v31
	v_lshrrev_b32_e32 v49, 26, v49
	v_ashrrev_i32_e32 v50, 31, v51
	v_add_u32_e32 v49, v31, v49
	v_lshrrev_b32_e32 v50, 22, v50
	v_ashrrev_i32_e32 v40, 6, v49
	v_and_b32_e32 v49, 0xffffffc0, v49
	v_add_u32_e32 v50, v51, v50
	v_sub_u32_e32 v49, v31, v49
	v_ashrrev_i32_e32 v43, 10, v50
	v_and_b32_e32 v50, 0xfffffc00, v50
	v_lshlrev_b32_e32 v31, 4, v49
	v_sub_u32_e32 v42, v51, v50
	v_lshl_add_u32 v41, v40, 10, v31
	v_cmp_lt_i32_e32 vcc, 15, v42
	v_sub_u32_e32 v31, v51, v41
	v_addc_co_u32_e64 v51, s[20:21], 0, v43, vcc
	v_sub_u32_e32 v51, v51, v40
	v_cmp_lt_i32_e64 s[20:21], 15, v31
	s_and_saveexec_b64 s[58:59], s[20:21]
	s_cbranch_execz .LBB2_648
; %bb.645:                              ;   in Loop: Header=BB2_567 Depth=1
	v_add_u32_e32 v41, v41, v48
	v_ashrrev_i32_e32 v43, 31, v41
	s_mov_b64 s[60:61], 0
.LBB2_646:                              ;   Parent Loop BB2_567 Depth=1
                                        ; =>  This Inner Loop Header: Depth=2
	v_add_co_u32_e64 v46, s[20:21], v36, v41
	v_addc_co_u32_e64 v47, s[20:21], v37, v43, s[20:21]
	global_load_dwordx4 v[56:59], v[46:47], off glc slc
	v_add_co_u32_e64 v46, s[20:21], v38, v41
	v_addc_co_u32_e64 v47, s[20:21], v39, v43, s[20:21]
	v_add_co_u32_e64 v41, s[20:21], v41, v53
	v_sub_u32_e32 v31, v31, v53
	v_addc_co_u32_e64 v43, s[20:21], 0, v43, s[20:21]
	v_cmp_gt_i32_e64 s[20:21], 16, v31
	v_sub_u32_e32 v51, v51, v2
	s_or_b64 s[60:61], s[20:21], s[60:61]
	s_waitcnt vmcnt(0)
	global_store_dwordx4 v[46:47], v[56:59], off glc slc
	s_andn2_b64 exec, exec, s[60:61]
	s_cbranch_execnz .LBB2_646
; %bb.647:                              ;   in Loop: Header=BB2_567 Depth=1
	s_or_b64 exec, exec, s[60:61]
.LBB2_648:                              ;   in Loop: Header=BB2_567 Depth=1
	s_or_b64 exec, exec, s[58:59]
	v_and_b32_e32 v43, 14, v30
	v_cndmask_b32_e32 v30, v42, v43, vcc
	v_mov_b32_e32 v31, 0
	v_cmp_ne_u32_e64 s[20:21], 0, v30
	s_mov_b64 s[58:59], 0
                                        ; implicit-def: $vgpr41
                                        ; implicit-def: $vgpr47
	s_and_saveexec_b64 s[60:61], s[20:21]
	s_cbranch_execz .LBB2_650
; %bb.649:                              ;   in Loop: Header=BB2_567 Depth=1
	v_sub_u32_e32 v31, v42, v43
	v_cndmask_b32_e32 v31, 0, v31, vcc
	v_cmp_lt_i32_e32 vcc, 0, v51
	v_add3_u32 v31, v50, v48, v31
	v_cndmask_b32_e32 v48, 0, v2, vcc
	v_sub_u32_e32 v48, v48, v51
	v_lshl_add_u32 v41, v48, 6, v49
	v_ashrrev_i32_e32 v48, 31, v41
	v_lshrrev_b32_e32 v48, 26, v48
	v_add_u32_e32 v48, v41, v48
	s_mov_b64 s[58:59], exec
	v_ashrrev_i32_e32 v47, 6, v48
.LBB2_650:                              ;   in Loop: Header=BB2_567 Depth=1
	s_or_b64 exec, exec, s[60:61]
	s_and_b64 s[58:59], s[58:59], exec
.LBB2_651:                              ;   in Loop: Header=BB2_567 Depth=1
	s_or_b64 exec, exec, s[56:57]
	s_and_saveexec_b64 s[20:21], s[58:59]
	s_cbranch_execz .LBB2_660
.LBB2_652:                              ;   in Loop: Header=BB2_567 Depth=1
	v_ashrrev_i32_e32 v48, 31, v30
	v_lshrrev_b32_e32 v48, 23, v48
	v_add_u32_e32 v48, v30, v48
	v_ashrrev_i32_e32 v46, 9, v48
	v_sub_u32_e32 v42, v46, v47
	v_ashrrev_i32_e32 v48, 31, v41
	v_cmp_lt_i32_e32 vcc, 0, v42
	v_lshrrev_b32_e32 v43, 26, v48
	s_and_saveexec_b64 s[56:57], vcc
	s_cbranch_execz .LBB2_656
; %bb.653:                              ;   in Loop: Header=BB2_567 Depth=1
	v_add_u32_e32 v48, v41, v43
	v_and_b32_e32 v48, 0x7fffffc0, v48
	v_sub_u32_e32 v48, v41, v48
	v_lshlrev_b32_e32 v48, 1, v48
	v_lshlrev_b32_e32 v49, 9, v47
	v_add3_u32 v47, v48, v31, v49
	v_mov_b32_e32 v49, v39
	v_mov_b32_e32 v51, v37
	v_ashrrev_i32_e32 v56, 31, v47
	s_mov_b64 s[58:59], 0
	v_mov_b32_e32 v48, v38
	v_mov_b32_e32 v50, v36
.LBB2_654:                              ;   Parent Loop BB2_567 Depth=1
                                        ; =>  This Inner Loop Header: Depth=2
	v_add_co_u32_e32 v57, vcc, v47, v50
	v_addc_co_u32_e32 v58, vcc, v56, v51, vcc
	flat_load_ushort v40, v[57:58] glc slc
	flat_load_ushort v59, v[57:58] offset:128 glc slc
	flat_load_ushort v61, v[57:58] offset:256 glc slc
	;; [unrolled: 1-line block ×3, first 2 shown]
	v_add_co_u32_e32 v57, vcc, v47, v48
	v_addc_co_u32_e32 v58, vcc, v56, v49, vcc
	v_add_co_u32_e32 v50, vcc, v50, v54
	v_addc_co_u32_e32 v51, vcc, 0, v51, vcc
	v_add_co_u32_e32 v48, vcc, v48, v54
	v_sub_u32_e32 v42, v42, v2
	v_addc_co_u32_e32 v49, vcc, 0, v49, vcc
	v_cmp_gt_i32_e32 vcc, 1, v42
	s_or_b64 s[58:59], vcc, s[58:59]
	s_waitcnt vmcnt(0) lgkmcnt(0)
	flat_store_short v[57:58], v40 glc slc
	flat_store_short v[57:58], v59 offset:128 glc slc
	flat_store_short v[57:58], v61 offset:256 glc slc
	;; [unrolled: 1-line block ×3, first 2 shown]
	s_andn2_b64 exec, exec, s[58:59]
	s_cbranch_execnz .LBB2_654
; %bb.655:                              ;   in Loop: Header=BB2_567 Depth=1
	s_or_b64 exec, exec, s[58:59]
.LBB2_656:                              ;   in Loop: Header=BB2_567 Depth=1
	s_or_b64 exec, exec, s[56:57]
	v_lshlrev_b32_e32 v48, 9, v46
	v_cmp_ne_u32_e32 vcc, v30, v48
	s_and_b64 exec, exec, vcc
	s_cbranch_execz .LBB2_660
; %bb.657:                              ;   in Loop: Header=BB2_567 Depth=1
	v_add_u32_e32 v49, v41, v43
	v_and_b32_e32 v49, 0xffffffc0, v49
	v_sub_u32_e32 v49, v41, v49
	v_lshlrev_b32_e32 v50, 6, v42
	v_sub_u32_e32 v49, v49, v50
	v_ashrrev_i32_e32 v50, 31, v49
	v_lshrrev_b32_e32 v50, 26, v50
	v_add_u32_e32 v50, v49, v50
	v_and_b32_e32 v51, 0x7fffffc0, v50
	v_sub_u32_e32 v49, v49, v51
	v_lshlrev_b32_e32 v50, 1, v50
	v_and_b32_e32 v50, 0xffffff80, v50
	v_lshlrev_b32_e32 v49, 1, v49
	v_add3_u32 v48, v50, v49, v48
	v_sub_u32_e32 v30, v30, v48
	v_cmp_lt_i32_e32 vcc, 1, v30
	s_and_b64 exec, exec, vcc
	s_cbranch_execz .LBB2_660
; %bb.658:                              ;   in Loop: Header=BB2_567 Depth=1
	v_add_u32_e32 v31, v48, v31
	v_ashrrev_i32_e32 v48, 31, v31
	s_mov_b64 s[56:57], 0
.LBB2_659:                              ;   Parent Loop BB2_567 Depth=1
                                        ; =>  This Inner Loop Header: Depth=2
	v_add_co_u32_e32 v49, vcc, v36, v31
	v_addc_co_u32_e32 v50, vcc, v37, v48, vcc
	flat_load_ushort v51, v[49:50] glc slc
	v_add_co_u32_e32 v49, vcc, v38, v31
	v_addc_co_u32_e32 v50, vcc, v39, v48, vcc
	v_add_co_u32_e32 v31, vcc, v31, v55
	v_sub_u32_e32 v30, v30, v55
	v_addc_co_u32_e32 v48, vcc, 0, v48, vcc
	v_cmp_gt_i32_e32 vcc, 2, v30
	s_or_b64 s[56:57], vcc, s[56:57]
	s_waitcnt vmcnt(0) lgkmcnt(0)
	flat_store_short v[49:50], v51 glc slc
	s_andn2_b64 exec, exec, s[56:57]
	s_cbranch_execnz .LBB2_659
.LBB2_660:                              ;   in Loop: Header=BB2_567 Depth=1
	s_or_b64 exec, exec, s[20:21]
	v_cmp_ne_u32_e64 s[20:21], 0, v10
	s_and_saveexec_b64 s[56:57], s[10:11]
	s_cbranch_execz .LBB2_679
.LBB2_661:                              ;   in Loop: Header=BB2_567 Depth=1
	s_and_saveexec_b64 s[58:59], s[28:29]
	s_xor_b64 s[58:59], exec, s[58:59]
	s_cbranch_execz .LBB2_676
; %bb.662:                              ;   in Loop: Header=BB2_567 Depth=1
	s_and_saveexec_b64 s[60:61], s[12:13]
	s_cbranch_execz .LBB2_675
; %bb.663:                              ;   in Loop: Header=BB2_567 Depth=1
	s_mov_b64 s[72:73], exec
	v_mbcnt_lo_u32_b32 v10, s72, 0
	v_mbcnt_hi_u32_b32 v10, s73, v10
	v_cmp_eq_u32_e32 vcc, 0, v10
	s_waitcnt vmcnt(0) lgkmcnt(0)
	buffer_wbinvl1_vol
	s_and_saveexec_b64 s[62:63], vcc
	s_cbranch_execz .LBB2_665
; %bb.664:                              ;   in Loop: Header=BB2_567 Depth=1
	s_bcnt1_i32_b64 s72, s[72:73]
	v_mov_b32_e32 v10, s72
	ds_add_u64 v0, v[10:11]
	s_trap 2
.LBB2_665:                              ;   in Loop: Header=BB2_567 Depth=1
	s_or_b64 exec, exec, s[62:63]
	s_trap 2
	ds_read_b64 v[30:31], v0
	s_waitcnt lgkmcnt(0)
	v_add_co_u32_e32 v26, vcc, v26, v2
	v_addc_co_u32_e32 v27, vcc, 0, v27, vcc
	v_cmp_lt_u64_e32 vcc, v[30:31], v[26:27]
	s_and_saveexec_b64 s[62:63], vcc
	s_cbranch_execz .LBB2_674
; %bb.666:                              ;   in Loop: Header=BB2_567 Depth=1
	s_mov_b32 s92, 0
	s_mov_b64 s[72:73], 0
                                        ; implicit-def: $sgpr74_sgpr75
                                        ; implicit-def: $sgpr76_sgpr77
	s_branch .LBB2_668
.LBB2_667:                              ;   in Loop: Header=BB2_668 Depth=2
	s_or_b64 exec, exec, s[88:89]
	s_and_b64 s[78:79], exec, s[90:91]
	s_or_b64 s[72:73], s[78:79], s[72:73]
	s_andn2_b64 s[74:75], s[74:75], exec
	s_and_b64 s[78:79], s[76:77], exec
	s_or_b64 s[74:75], s[74:75], s[78:79]
	s_andn2_b64 exec, exec, s[72:73]
	s_cbranch_execz .LBB2_672
.LBB2_668:                              ;   Parent Loop BB2_567 Depth=1
                                        ; =>  This Inner Loop Header: Depth=2
	s_add_i32 s92, s92, 1
	s_cmpk_lg_i32 s92, 0x2710
	s_cselect_b64 s[78:79], -1, 0
	s_and_b64 vcc, exec, s[78:79]
	s_cbranch_vccz .LBB2_670
; %bb.669:                              ;   in Loop: Header=BB2_668 Depth=2
	s_mov_b64 s[90:91], -1
	s_or_b64 s[76:77], s[76:77], exec
	s_and_saveexec_b64 s[88:89], s[78:79]
	s_cbranch_execz .LBB2_667
	s_branch .LBB2_671
.LBB2_670:                              ;   in Loop: Header=BB2_668 Depth=2
	s_trap 2
	ds_read_b64 v[30:31], v0
	s_andn2_b64 s[78:79], s[78:79], exec
	s_mov_b32 s92, 0
	s_waitcnt lgkmcnt(0)
	flat_load_dword v10, v[30:31] glc
	s_waitcnt vmcnt(0) lgkmcnt(0)
	buffer_wbinvl1_vol
	v_cmp_eq_u32_e32 vcc, 0, v10
	s_and_b64 s[88:89], vcc, exec
	s_or_b64 s[78:79], s[78:79], s[88:89]
	s_mov_b64 s[90:91], -1
	s_or_b64 s[76:77], s[76:77], exec
	s_and_saveexec_b64 s[88:89], s[78:79]
	s_cbranch_execz .LBB2_667
.LBB2_671:                              ;   in Loop: Header=BB2_668 Depth=2
	s_sleep 1
	s_trap 2
	ds_read_b64 v[30:31], v0
	s_waitcnt lgkmcnt(0)
	s_andn2_b64 s[76:77], s[76:77], exec
	v_cmp_ge_u64_e32 vcc, v[30:31], v[26:27]
	s_orn2_b64 s[90:91], vcc, exec
	s_branch .LBB2_667
.LBB2_672:                              ;   in Loop: Header=BB2_567 Depth=1
	s_or_b64 exec, exec, s[72:73]
	s_and_saveexec_b64 s[72:73], s[74:75]
	s_xor_b64 s[72:73], exec, s[72:73]
	s_cbranch_execz .LBB2_674
; %bb.673:                              ;   in Loop: Header=BB2_567 Depth=1
	ds_write_b32 v0, v60
	s_trap 2
.LBB2_674:                              ;   in Loop: Header=BB2_567 Depth=1
	s_or_b64 exec, exec, s[62:63]
	;;#ASMSTART
	s_wakeup
	;;#ASMEND
.LBB2_675:                              ;   in Loop: Header=BB2_567 Depth=1
	s_or_b64 exec, exec, s[60:61]
.LBB2_676:                              ;   in Loop: Header=BB2_567 Depth=1
	s_andn2_saveexec_b64 s[58:59], s[58:59]
	s_cbranch_execz .LBB2_678
; %bb.677:                              ;   in Loop: Header=BB2_567 Depth=1
	s_waitcnt vmcnt(0) lgkmcnt(0)
	buffer_wbinvl1_vol
	s_barrier
.LBB2_678:                              ;   in Loop: Header=BB2_567 Depth=1
	s_or_b64 exec, exec, s[58:59]
.LBB2_679:                              ;   in Loop: Header=BB2_567 Depth=1
	s_or_b64 exec, exec, s[56:57]
	v_and_b32_e32 v10, 16, v44
	v_cmp_ne_u32_e32 vcc, 0, v10
	s_and_b64 s[56:57], vcc, s[20:21]
	s_and_saveexec_b64 s[20:21], s[56:57]
	s_cbranch_execz .LBB2_681
; %bb.680:                              ;   in Loop: Header=BB2_567 Depth=1
	s_waitcnt vmcnt(0) lgkmcnt(0)
	buffer_wbinvl1_vol
.LBB2_681:                              ;   in Loop: Header=BB2_567 Depth=1
	s_or_b64 exec, exec, s[20:21]
	v_cmp_ne_u32_e32 vcc, 0, v10
	s_and_saveexec_b64 s[20:21], vcc
	s_cbranch_execz .LBB2_685
; %bb.682:                              ;   in Loop: Header=BB2_567 Depth=1
	s_and_saveexec_b64 s[56:57], s[18:19]
	s_cbranch_execz .LBB2_684
; %bb.683:                              ;   in Loop: Header=BB2_567 Depth=1
	flat_store_dword v[34:35], v60
.LBB2_684:                              ;   in Loop: Header=BB2_567 Depth=1
	s_or_b64 exec, exec, s[56:57]
	v_add_co_u32_e32 v8, vcc, 1, v8
	v_addc_co_u32_e32 v9, vcc, 0, v9, vcc
	flat_store_dwordx2 v[22:23], v[8:9]
.LBB2_685:                              ;   in Loop: Header=BB2_567 Depth=1
	s_or_b64 exec, exec, s[20:21]
	v_mov_b32_e32 v10, v17
.LBB2_686:                              ;   in Loop: Header=BB2_567 Depth=1
	s_or_b64 exec, exec, s[46:47]
	s_and_saveexec_b64 s[46:47], s[44:45]
	s_cbranch_execz .LBB2_566
; %bb.687:                              ;   in Loop: Header=BB2_567 Depth=1
	v_sub_u32_e32 v10, v16, v10
	v_min_i32_e32 v16, v17, v10
	v_and_b32_e32 v10, 8, v44
	v_cmp_ne_u32_e32 vcc, 0, v10
	s_and_saveexec_b64 s[44:45], vcc
	s_cbranch_execz .LBB2_709
; %bb.688:                              ;   in Loop: Header=BB2_567 Depth=1
	s_waitcnt vmcnt(0)
	v_add_co_u32_e32 v30, vcc, 8, v28
	v_addc_co_u32_e32 v31, vcc, 0, v29, vcc
	v_add_co_u32_e32 v36, vcc, 1, v8
	v_addc_co_u32_e32 v37, vcc, 0, v9, vcc
	v_cmp_lt_u64_e32 vcc, v[30:31], v[36:37]
	s_and_saveexec_b64 s[56:57], vcc
	s_cbranch_execz .LBB2_700
; %bb.689:                              ;   in Loop: Header=BB2_567 Depth=1
	v_and_b32_e32 v9, 64, v44
	s_mov_b32 s92, 0
	v_cmp_eq_u32_e32 vcc, 0, v9
	s_mov_b64 s[58:59], 0
                                        ; implicit-def: $sgpr60_sgpr61
                                        ; implicit-def: $sgpr62_sgpr63
                                        ; implicit-def: $sgpr72_sgpr73
	s_branch .LBB2_693
.LBB2_690:                              ;   in Loop: Header=BB2_693 Depth=2
	s_waitcnt vmcnt(0) lgkmcnt(0)
	v_add_co_u32_e64 v30, s[20:21], 8, v28
	v_addc_co_u32_e64 v31, s[20:21], 0, v29, s[20:21]
	v_cmp_ge_u64_e64 s[20:21], v[30:31], v[36:37]
	s_or_b64 s[78:79], s[78:79], exec
	s_orn2_b64 s[76:77], s[20:21], exec
.LBB2_691:                              ;   in Loop: Header=BB2_693 Depth=2
	s_or_b64 exec, exec, s[90:91]
	s_andn2_b64 s[20:21], s[72:73], exec
	s_and_b64 s[72:73], s[78:79], exec
	s_or_b64 s[72:73], s[20:21], s[72:73]
	s_andn2_b64 s[20:21], s[62:63], exec
	s_and_b64 s[62:63], s[76:77], exec
	s_or_b64 s[62:63], s[20:21], s[62:63]
.LBB2_692:                              ;   in Loop: Header=BB2_693 Depth=2
	s_or_b64 exec, exec, s[74:75]
	s_and_b64 s[20:21], exec, s[62:63]
	s_or_b64 s[58:59], s[20:21], s[58:59]
	s_andn2_b64 s[20:21], s[60:61], exec
	s_and_b64 s[60:61], s[72:73], exec
	s_or_b64 s[60:61], s[20:21], s[60:61]
	s_andn2_b64 exec, exec, s[58:59]
	s_cbranch_execz .LBB2_697
.LBB2_693:                              ;   Parent Loop BB2_567 Depth=1
                                        ; =>  This Inner Loop Header: Depth=2
	s_sleep 1
	s_waitcnt vmcnt(0) lgkmcnt(0)
	flat_load_dwordx2 v[28:29], v[22:23] glc
	s_or_b64 s[72:73], s[72:73], exec
	s_or_b64 s[62:63], s[62:63], exec
                                        ; implicit-def: $vgpr9
	s_and_saveexec_b64 s[74:75], vcc
	s_cbranch_execz .LBB2_692
; %bb.694:                              ;   in Loop: Header=BB2_693 Depth=2
	s_cmpk_lt_i32 s92, 0x270f
	s_cselect_b64 s[88:89], -1, 0
	s_cmpk_gt_i32 s92, 0x270e
	s_mov_b64 s[76:77], -1
	s_cbranch_scc0 .LBB2_696
; %bb.695:                              ;   in Loop: Header=BB2_693 Depth=2
	s_trap 2
	ds_read_b64 v[9:10], v0
	s_andn2_b64 s[88:89], s[88:89], exec
	s_mov_b32 s92, 0
	s_mov_b64 s[78:79], 0
	s_waitcnt vmcnt(0) lgkmcnt(0)
	flat_load_dword v9, v[9:10] glc
	s_waitcnt vmcnt(0) lgkmcnt(0)
	buffer_wbinvl1_vol
	v_cmp_eq_u32_e64 s[20:21], 0, v9
	s_and_b64 s[20:21], s[20:21], exec
	s_or_b64 s[88:89], s[88:89], s[20:21]
	s_and_saveexec_b64 s[90:91], s[88:89]
	s_cbranch_execz .LBB2_691
	s_branch .LBB2_690
.LBB2_696:                              ;   in Loop: Header=BB2_693 Depth=2
	s_add_i32 s92, s92, 1
	s_mov_b64 s[78:79], -1
                                        ; implicit-def: $vgpr9
	s_and_saveexec_b64 s[90:91], s[88:89]
	s_cbranch_execz .LBB2_691
	s_branch .LBB2_690
.LBB2_697:                              ;   in Loop: Header=BB2_567 Depth=1
	s_or_b64 exec, exec, s[58:59]
	s_xor_b64 s[20:21], s[60:61], -1
	s_and_saveexec_b64 s[58:59], s[20:21]
	s_xor_b64 s[20:21], exec, s[58:59]
	s_cbranch_execz .LBB2_699
; %bb.698:                              ;   in Loop: Header=BB2_567 Depth=1
	v_or_b32_e32 v44, 64, v44
	s_waitcnt lgkmcnt(0)
	ds_write_b32 v0, v9
	s_trap 2
.LBB2_699:                              ;   in Loop: Header=BB2_567 Depth=1
	s_or_b64 exec, exec, s[20:21]
.LBB2_700:                              ;   in Loop: Header=BB2_567 Depth=1
	s_or_b64 exec, exec, s[56:57]
	v_and_b32_e32 v9, 0x100, v44
	v_cmp_ne_u32_e32 vcc, 0, v9
	v_and_b32_e32 v10, 7, v8
	s_mov_b64 s[20:21], -1
	;;#ASMSTART
	s_wakeup
	;;#ASMEND
                                        ; implicit-def: $vgpr8_vgpr9
	s_and_saveexec_b64 s[56:57], vcc
	s_cbranch_execz .LBB2_704
; %bb.701:                              ;   in Loop: Header=BB2_567 Depth=1
	v_mad_u64_u32 v[38:39], s[20:21], v10, 24, v[6:7]
	v_ashrrev_i32_e32 v17, 31, v16
	v_lshlrev_b64 v[8:9], 1, v[16:17]
	flat_load_dword v30, v[38:39]
	s_waitcnt vmcnt(0) lgkmcnt(0)
	v_cmp_ne_u32_e32 vcc, 1, v30
	v_cmp_eq_u32_e64 s[20:21], 1, v30
	flat_store_dwordx2 v[38:39], v[8:9] offset:8
                                        ; implicit-def: $vgpr8_vgpr9
	s_and_saveexec_b64 s[58:59], s[20:21]
	s_cbranch_execz .LBB2_703
; %bb.702:                              ;   in Loop: Header=BB2_567 Depth=1
	flat_load_dword v8, v[38:39] offset:4 glc
	s_waitcnt vmcnt(0) lgkmcnt(0)
	v_ashrrev_i32_e32 v9, 31, v8
	v_lshrrev_b64 v[8:9], 1, v[8:9]
.LBB2_703:                              ;   in Loop: Header=BB2_567 Depth=1
	s_or_b64 exec, exec, s[58:59]
	s_orn2_b64 s[20:21], vcc, exec
.LBB2_704:                              ;   in Loop: Header=BB2_567 Depth=1
	s_or_b64 exec, exec, s[56:57]
	s_and_saveexec_b64 s[56:57], s[20:21]
; %bb.705:                              ;   in Loop: Header=BB2_567 Depth=1
	v_mad_i64_i32 v[8:9], s[20:21], v10, v45, 0
; %bb.706:                              ;   in Loop: Header=BB2_567 Depth=1
	s_or_b64 exec, exec, s[56:57]
	v_lshlrev_b64 v[8:9], 1, v[8:9]
	v_add_co_u32_e32 v8, vcc, v24, v8
	v_addc_co_u32_e32 v9, vcc, v25, v9, vcc
	ds_write_b64 v0, v[8:9] offset:784
	v_and_b32_e32 v8, 0x2000, v44
	v_cmp_ne_u32_e32 vcc, 0, v8
	s_and_saveexec_b64 s[20:21], vcc
	s_cbranch_execz .LBB2_708
; %bb.707:                              ;   in Loop: Header=BB2_567 Depth=1
	ds_read_b64 v[8:9], v0 offset:872
	s_waitcnt lgkmcnt(0)
	v_add_co_u32_e32 v8, vcc, 1, v8
	v_addc_co_u32_e32 v9, vcc, 0, v9, vcc
	ds_write_b64 v0, v[8:9] offset:872
.LBB2_708:                              ;   in Loop: Header=BB2_567 Depth=1
	s_or_b64 exec, exec, s[20:21]
	v_mov_b32_e32 v8, v36
	v_mov_b32_e32 v9, v37
.LBB2_709:                              ;   in Loop: Header=BB2_567 Depth=1
	s_or_b64 exec, exec, s[44:45]
	s_and_saveexec_b64 s[20:21], s[10:11]
	s_cbranch_execz .LBB2_728
; %bb.710:                              ;   in Loop: Header=BB2_567 Depth=1
	s_and_saveexec_b64 s[44:45], s[28:29]
	s_xor_b64 s[44:45], exec, s[44:45]
	s_cbranch_execz .LBB2_725
; %bb.711:                              ;   in Loop: Header=BB2_567 Depth=1
	s_and_saveexec_b64 s[56:57], s[12:13]
	s_cbranch_execz .LBB2_724
; %bb.712:                              ;   in Loop: Header=BB2_567 Depth=1
	s_mov_b64 s[60:61], exec
	v_mbcnt_lo_u32_b32 v10, s60, 0
	v_mbcnt_hi_u32_b32 v10, s61, v10
	v_cmp_eq_u32_e32 vcc, 0, v10
	s_waitcnt vmcnt(0) lgkmcnt(0)
	buffer_wbinvl1_vol
	s_and_saveexec_b64 s[58:59], vcc
	s_cbranch_execz .LBB2_714
; %bb.713:                              ;   in Loop: Header=BB2_567 Depth=1
	s_bcnt1_i32_b64 s60, s[60:61]
	v_mov_b32_e32 v10, s60
	ds_add_u64 v0, v[10:11]
	s_trap 2
.LBB2_714:                              ;   in Loop: Header=BB2_567 Depth=1
	s_or_b64 exec, exec, s[58:59]
	s_trap 2
	ds_read_b64 v[30:31], v0
	s_waitcnt lgkmcnt(0)
	v_add_co_u32_e32 v26, vcc, v26, v2
	v_addc_co_u32_e32 v27, vcc, 0, v27, vcc
	v_cmp_lt_u64_e32 vcc, v[30:31], v[26:27]
	s_and_saveexec_b64 s[58:59], vcc
	s_cbranch_execz .LBB2_723
; %bb.715:                              ;   in Loop: Header=BB2_567 Depth=1
	s_mov_b32 s88, 0
	s_mov_b64 s[60:61], 0
                                        ; implicit-def: $sgpr62_sgpr63
                                        ; implicit-def: $sgpr72_sgpr73
	s_branch .LBB2_717
.LBB2_716:                              ;   in Loop: Header=BB2_717 Depth=2
	s_or_b64 exec, exec, s[76:77]
	s_and_b64 s[74:75], exec, s[78:79]
	s_or_b64 s[60:61], s[74:75], s[60:61]
	s_andn2_b64 s[62:63], s[62:63], exec
	s_and_b64 s[74:75], s[72:73], exec
	s_or_b64 s[62:63], s[62:63], s[74:75]
	s_andn2_b64 exec, exec, s[60:61]
	s_cbranch_execz .LBB2_721
.LBB2_717:                              ;   Parent Loop BB2_567 Depth=1
                                        ; =>  This Inner Loop Header: Depth=2
	s_add_i32 s88, s88, 1
	s_cmpk_lg_i32 s88, 0x2710
	s_cselect_b64 s[74:75], -1, 0
	s_and_b64 vcc, exec, s[74:75]
	s_cbranch_vccz .LBB2_719
; %bb.718:                              ;   in Loop: Header=BB2_717 Depth=2
	s_mov_b64 s[78:79], -1
	s_or_b64 s[72:73], s[72:73], exec
	s_and_saveexec_b64 s[76:77], s[74:75]
	s_cbranch_execz .LBB2_716
	s_branch .LBB2_720
.LBB2_719:                              ;   in Loop: Header=BB2_717 Depth=2
	s_trap 2
	ds_read_b64 v[30:31], v0
	s_andn2_b64 s[74:75], s[74:75], exec
	s_mov_b32 s88, 0
	s_waitcnt lgkmcnt(0)
	flat_load_dword v10, v[30:31] glc
	s_waitcnt vmcnt(0) lgkmcnt(0)
	buffer_wbinvl1_vol
	v_cmp_eq_u32_e32 vcc, 0, v10
	s_and_b64 s[76:77], vcc, exec
	s_or_b64 s[74:75], s[74:75], s[76:77]
	s_mov_b64 s[78:79], -1
	s_or_b64 s[72:73], s[72:73], exec
	s_and_saveexec_b64 s[76:77], s[74:75]
	s_cbranch_execz .LBB2_716
.LBB2_720:                              ;   in Loop: Header=BB2_717 Depth=2
	s_sleep 1
	s_trap 2
	ds_read_b64 v[30:31], v0
	s_waitcnt lgkmcnt(0)
	s_andn2_b64 s[72:73], s[72:73], exec
	v_cmp_ge_u64_e32 vcc, v[30:31], v[26:27]
	s_orn2_b64 s[78:79], vcc, exec
	s_branch .LBB2_716
.LBB2_721:                              ;   in Loop: Header=BB2_567 Depth=1
	s_or_b64 exec, exec, s[60:61]
	s_and_saveexec_b64 s[60:61], s[62:63]
	s_xor_b64 s[60:61], exec, s[60:61]
	s_cbranch_execz .LBB2_723
; %bb.722:                              ;   in Loop: Header=BB2_567 Depth=1
	ds_write_b32 v0, v60
	s_trap 2
.LBB2_723:                              ;   in Loop: Header=BB2_567 Depth=1
	s_or_b64 exec, exec, s[58:59]
	;;#ASMSTART
	s_wakeup
	;;#ASMEND
.LBB2_724:                              ;   in Loop: Header=BB2_567 Depth=1
	s_or_b64 exec, exec, s[56:57]
.LBB2_725:                              ;   in Loop: Header=BB2_567 Depth=1
	s_andn2_saveexec_b64 s[44:45], s[44:45]
	s_cbranch_execz .LBB2_727
; %bb.726:                              ;   in Loop: Header=BB2_567 Depth=1
	s_waitcnt vmcnt(0) lgkmcnt(0)
	buffer_wbinvl1_vol
	s_barrier
.LBB2_727:                              ;   in Loop: Header=BB2_567 Depth=1
	s_or_b64 exec, exec, s[44:45]
.LBB2_728:                              ;   in Loop: Header=BB2_567 Depth=1
	s_or_b64 exec, exec, s[20:21]
	s_trap 2
	ds_read_b32 v17, v0
	v_cmp_lt_i32_e32 vcc, 0, v16
	v_and_b32_e32 v10, 16, v44
	s_waitcnt lgkmcnt(0)
	v_readfirstlane_b32 s20, v17
	s_cmp_eq_u32 s20, 0
	s_cselect_b64 s[20:21], -1, 0
	s_and_b64 s[20:21], vcc, s[20:21]
	v_cmp_ne_u32_e32 vcc, 0, v10
	s_and_b64 s[44:45], vcc, s[20:21]
	s_and_saveexec_b64 s[20:21], s[44:45]
	s_cbranch_execz .LBB2_730
; %bb.729:                              ;   in Loop: Header=BB2_567 Depth=1
	s_waitcnt vmcnt(0)
	buffer_wbinvl1_vol
.LBB2_730:                              ;   in Loop: Header=BB2_567 Depth=1
	s_or_b64 exec, exec, s[20:21]
	v_cmp_ne_u32_e32 vcc, 0, v10
	s_and_saveexec_b64 s[20:21], vcc
	s_cbranch_execz .LBB2_565
; %bb.731:                              ;   in Loop: Header=BB2_567 Depth=1
	s_and_saveexec_b64 s[44:45], s[18:19]
	s_cbranch_execz .LBB2_564
; %bb.732:                              ;   in Loop: Header=BB2_567 Depth=1
	flat_store_dword v[34:35], v60
	s_branch .LBB2_564
.LBB2_733:
	s_or_b64 exec, exec, s[40:41]
	buffer_load_dword v31, off, s[0:3], s33 offset:60 ; 4-byte Folded Reload
	buffer_load_dword v30, off, s[0:3], s33 offset:64 ; 4-byte Folded Reload
.LBB2_734:
	s_or_b64 exec, exec, s[26:27]
.LBB2_735:
	s_or_b64 exec, exec, s[24:25]
	v_and_b32_e32 v0, 0x800, v44
	v_cmp_eq_u32_e32 vcc, 0, v0
	s_and_saveexec_b64 s[6:7], vcc
	s_cbranch_execz .LBB2_768
; %bb.736:
	v_and_b32_e32 v0, 48, v44
	v_cmp_ne_u32_e32 vcc, 0, v0
	s_and_saveexec_b64 s[4:5], vcc
	s_cbranch_execz .LBB2_738
; %bb.737:
	s_waitcnt lgkmcnt(0)
	flat_store_dwordx2 v[20:21], v[8:9] offset:104
.LBB2_738:
	s_or_b64 exec, exec, s[4:5]
	s_movk_i32 s4, 0x88
	v_and_b32_e32 v0, 0x88, v44
	v_cmp_eq_u32_e32 vcc, s4, v0
	s_and_saveexec_b64 s[10:11], vcc
	s_cbranch_execz .LBB2_748
; %bb.739:
	s_waitcnt lgkmcnt(0)
	v_add_u32_e32 v0, -1, v8
	v_and_b32_e32 v0, 7, v0
	v_mad_u64_u32 v[4:5], s[4:5], v0, 24, v[6:7]
	v_and_b32_e32 v0, 64, v44
	v_cmp_eq_u32_e64 s[4:5], 0, v0
	flat_load_dwordx2 v[2:3], v[4:5] offset:8 glc
	s_waitcnt vmcnt(0)
	s_mov_b32 s24, 0
	s_waitcnt lgkmcnt(0)
	v_cmp_ne_u64_e32 vcc, -1, v[2:3]
	s_and_b64 s[4:5], vcc, s[4:5]
	s_and_b64 exec, exec, s[4:5]
	s_cbranch_execz .LBB2_748
; %bb.740:
	s_mov_b64 s[4:5], 0
                                        ; implicit-def: $sgpr12_sgpr13
                                        ; implicit-def: $sgpr14_sgpr15
	s_branch .LBB2_743
.LBB2_741:                              ;   in Loop: Header=BB2_743 Depth=1
	flat_load_dwordx2 v[2:3], v[4:5] offset:8 glc
	s_waitcnt vmcnt(0)
	s_andn2_b64 s[14:15], s[14:15], exec
	s_waitcnt lgkmcnt(0)
	v_cmp_eq_u64_e32 vcc, -1, v[2:3]
	s_orn2_b64 s[18:19], vcc, exec
.LBB2_742:                              ;   in Loop: Header=BB2_743 Depth=1
	s_or_b64 exec, exec, s[20:21]
	s_and_b64 s[16:17], exec, s[18:19]
	s_or_b64 s[4:5], s[16:17], s[4:5]
	s_andn2_b64 s[12:13], s[12:13], exec
	s_and_b64 s[16:17], s[14:15], exec
	s_or_b64 s[12:13], s[12:13], s[16:17]
	s_andn2_b64 exec, exec, s[4:5]
	s_cbranch_execz .LBB2_746
.LBB2_743:                              ; =>This Inner Loop Header: Depth=1
	s_cmpk_lt_i32 s24, 0x270f
	s_cselect_b64 s[16:17], -1, 0
	s_and_b64 vcc, exec, s[16:17]
	s_cbranch_vccnz .LBB2_745
; %bb.744:                              ;   in Loop: Header=BB2_743 Depth=1
	s_trap 2
	ds_read_b64 v[2:3], v0
	s_andn2_b64 s[16:17], s[16:17], exec
	s_mov_b32 s24, 0
	s_waitcnt lgkmcnt(0)
	flat_load_dword v0, v[2:3] glc
	s_waitcnt vmcnt(0) lgkmcnt(0)
	buffer_wbinvl1_vol
	v_cmp_eq_u32_e32 vcc, 0, v0
	s_and_b64 s[18:19], vcc, exec
	s_or_b64 s[16:17], s[16:17], s[18:19]
	s_mov_b64 s[18:19], -1
	s_or_b64 s[14:15], s[14:15], exec
	s_and_saveexec_b64 s[20:21], s[16:17]
	s_cbranch_execz .LBB2_742
	s_branch .LBB2_741
.LBB2_745:                              ;   in Loop: Header=BB2_743 Depth=1
	s_add_i32 s24, s24, 1
                                        ; implicit-def: $vgpr0
	s_mov_b64 s[18:19], -1
	s_or_b64 s[14:15], s[14:15], exec
	s_and_saveexec_b64 s[20:21], s[16:17]
	s_cbranch_execz .LBB2_742
	s_branch .LBB2_741
.LBB2_746:
	s_or_b64 exec, exec, s[4:5]
	s_and_saveexec_b64 s[4:5], s[12:13]
	s_xor_b64 s[4:5], exec, s[4:5]
	s_cbranch_execz .LBB2_748
; %bb.747:
	ds_write_b32 v0, v0
	s_trap 2
.LBB2_748:
	s_or_b64 exec, exec, s[10:11]
	v_and_b32_e32 v0, 0x2000, v44
	v_cmp_ne_u32_e32 vcc, 0, v0
	s_and_saveexec_b64 s[4:5], vcc
	s_cbranch_execz .LBB2_750
; %bb.749:
	s_trap 2
	ds_read_b64 v[2:3], v0
	buffer_load_dword v4, off, s[0:3], s33 offset:68 ; 4-byte Folded Reload
	buffer_load_dword v5, off, s[0:3], s33 offset:72 ; 4-byte Folded Reload
	s_waitcnt vmcnt(0) lgkmcnt(0)
	flat_store_dwordx2 v[4:5], v[2:3] offset:16
.LBB2_750:
	s_or_b64 exec, exec, s[4:5]
	v_cmp_ne_u32_e32 vcc, 64, v1
	s_and_b64 exec, exec, vcc
	s_cbranch_execz .LBB2_768
; %bb.751:
	s_waitcnt vmcnt(0)
	v_cmp_ne_u32_sdwa s[4:5], v1, v30 src0_sel:DWORD src1_sel:WORD_0
	s_and_saveexec_b64 s[10:11], s[4:5]
	s_xor_b64 s[4:5], exec, s[10:11]
	s_cbranch_execz .LBB2_766
; %bb.752:
	v_and_b32_e32 v0, 63, v31
	v_cmp_eq_u32_e32 vcc, 0, v0
	s_and_saveexec_b64 s[10:11], vcc
	s_cbranch_execz .LBB2_765
; %bb.753:
	s_mov_b64 s[14:15], exec
	v_mbcnt_lo_u32_b32 v0, s14, 0
	v_mbcnt_hi_u32_b32 v0, s15, v0
	v_cmp_eq_u32_e32 vcc, 0, v0
	s_waitcnt lgkmcnt(0)
	buffer_wbinvl1_vol
	s_and_saveexec_b64 s[12:13], vcc
	s_cbranch_execz .LBB2_755
; %bb.754:
	s_bcnt1_i32_b64 s14, s[14:15]
	v_mov_b32_e32 v2, s14
	v_mov_b32_e32 v3, 0
	ds_add_u64 v0, v[2:3]
	s_trap 2
.LBB2_755:
	s_or_b64 exec, exec, s[12:13]
	v_lshrrev_b32_e32 v0, 6, v1
	s_trap 2
	ds_read_b64 v[2:3], v0
	s_waitcnt lgkmcnt(0)
	v_add_co_u32_e32 v0, vcc, v26, v0
	v_addc_co_u32_e32 v1, vcc, 0, v27, vcc
	v_cmp_lt_u64_e32 vcc, v[2:3], v[0:1]
	s_and_saveexec_b64 s[12:13], vcc
	s_cbranch_execz .LBB2_764
; %bb.756:
	s_mov_b32 s28, 0
	s_mov_b64 s[14:15], 0
                                        ; implicit-def: $sgpr16_sgpr17
                                        ; implicit-def: $sgpr18_sgpr19
	s_branch .LBB2_758
.LBB2_757:                              ;   in Loop: Header=BB2_758 Depth=1
	s_or_b64 exec, exec, s[24:25]
	s_and_b64 s[20:21], exec, s[26:27]
	s_or_b64 s[14:15], s[20:21], s[14:15]
	s_andn2_b64 s[16:17], s[16:17], exec
	s_and_b64 s[20:21], s[18:19], exec
	s_or_b64 s[16:17], s[16:17], s[20:21]
	s_andn2_b64 exec, exec, s[14:15]
	s_cbranch_execz .LBB2_762
.LBB2_758:                              ; =>This Inner Loop Header: Depth=1
	s_add_i32 s28, s28, 1
	s_cmpk_lg_i32 s28, 0x2710
	s_cselect_b64 s[20:21], -1, 0
	s_and_b64 vcc, exec, s[20:21]
	s_cbranch_vccz .LBB2_760
; %bb.759:                              ;   in Loop: Header=BB2_758 Depth=1
	s_mov_b64 s[26:27], -1
	s_or_b64 s[18:19], s[18:19], exec
	s_and_saveexec_b64 s[24:25], s[20:21]
	s_cbranch_execz .LBB2_757
	s_branch .LBB2_761
.LBB2_760:                              ;   in Loop: Header=BB2_758 Depth=1
	s_trap 2
	ds_read_b64 v[2:3], v0
	s_andn2_b64 s[20:21], s[20:21], exec
	s_mov_b32 s28, 0
	s_waitcnt lgkmcnt(0)
	flat_load_dword v2, v[2:3] glc
	s_waitcnt vmcnt(0) lgkmcnt(0)
	buffer_wbinvl1_vol
	v_cmp_eq_u32_e32 vcc, 0, v2
	s_and_b64 s[24:25], vcc, exec
	s_or_b64 s[20:21], s[20:21], s[24:25]
	s_mov_b64 s[26:27], -1
	s_or_b64 s[18:19], s[18:19], exec
	s_and_saveexec_b64 s[24:25], s[20:21]
	s_cbranch_execz .LBB2_757
.LBB2_761:                              ;   in Loop: Header=BB2_758 Depth=1
	s_sleep 1
	s_trap 2
	ds_read_b64 v[2:3], v0
	s_waitcnt lgkmcnt(0)
	s_andn2_b64 s[18:19], s[18:19], exec
	v_cmp_ge_u64_e32 vcc, v[2:3], v[0:1]
	s_orn2_b64 s[26:27], vcc, exec
	s_branch .LBB2_757
.LBB2_762:
	s_or_b64 exec, exec, s[14:15]
	s_and_saveexec_b64 s[14:15], s[16:17]
	s_xor_b64 s[14:15], exec, s[14:15]
	s_cbranch_execz .LBB2_764
; %bb.763:
	v_mov_b32_e32 v0, 1
	ds_write_b32 v0, v0
	s_trap 2
.LBB2_764:
	s_or_b64 exec, exec, s[12:13]
	;;#ASMSTART
	s_wakeup
	;;#ASMEND
.LBB2_765:
	s_or_b64 exec, exec, s[10:11]
.LBB2_766:
	s_andn2_saveexec_b64 s[4:5], s[4:5]
	s_cbranch_execz .LBB2_768
; %bb.767:
	s_waitcnt lgkmcnt(0)
	buffer_wbinvl1_vol
	s_barrier
.LBB2_768:
	s_or_b64 exec, exec, s[6:7]
.LBB2_769:
	s_andn2_saveexec_b64 s[26:27], s[22:23]
	s_cbranch_execz .LBB2_771
; %bb.770:
	s_getpc_b64 s[4:5]
	s_add_u32 s4, s4, __PRETTY_FUNCTION__._ZN10PrimitivesI12hip_bfloat167FuncSumIS0_E12FanSymmetricILi1EELi0E11ProtoSimpleILi1ELi1ELi0ELi1ELi0ELi0EELi0ELb0ELi0ELi0ELi0EEC2EiiPKiS9_PKvPvmhhhP15ncclDevWorkCollP14ncclDevWorkP2pii@rel32@lo+4
	s_addc_u32 s5, s5, __PRETTY_FUNCTION__._ZN10PrimitivesI12hip_bfloat167FuncSumIS0_E12FanSymmetricILi1EELi0E11ProtoSimpleILi1ELi1ELi0ELi1ELi0ELi0EELi0ELb0ELi0ELi0ELi0EEC2EiiPKiS9_PKvPvmhhhP15ncclDevWorkCollP14ncclDevWorkP2pii@rel32@hi+12
	s_getpc_b64 s[6:7]
	s_add_u32 s6, s6, __assert_fail@rel32@lo+4
	s_addc_u32 s7, s7, __assert_fail@rel32@hi+12
	v_mov_b32_e32 v0, s4
	v_mov_b32_e32 v1, s5
	s_swappc_b64 s[30:31], s[6:7]
	; divergent unreachable
.LBB2_771:
	s_or_b64 exec, exec, s[26:27]
	buffer_load_dword v62, off, s[0:3], s33 ; 4-byte Folded Reload
	buffer_load_dword v61, off, s[0:3], s33 offset:4 ; 4-byte Folded Reload
	buffer_load_dword v60, off, s[0:3], s33 offset:8 ; 4-byte Folded Reload
	;; [unrolled: 1-line block ×14, first 2 shown]
	v_readlane_b32 s30, v63, 5
	v_readlane_b32 s31, v63, 6
	v_readlane_b32 s38, v63, 4
	v_readlane_b32 s37, v63, 3
	v_readlane_b32 s36, v63, 2
	v_readlane_b32 s35, v63, 1
	v_readlane_b32 s34, v63, 0
	s_mov_b32 s32, s33
	v_readlane_b32 s4, v63, 7
	s_or_saveexec_b64 s[6:7], -1
	buffer_load_dword v63, off, s[0:3], s33 offset:88 ; 4-byte Folded Reload
	s_mov_b64 exec, s[6:7]
	s_mov_b32 s33, s4
	s_waitcnt vmcnt(0) lgkmcnt(0)
	s_setpc_b64 s[30:31]
.Lfunc_end2:
	.size	_ZN12_GLOBAL__N_17runRingI12hip_bfloat167FuncSumIS1_E11ProtoSimpleILi1ELi1ELi0ELi1ELi0ELi0EELi0ELi1ELi0EEEviiP15ncclDevWorkColl, .Lfunc_end2-_ZN12_GLOBAL__N_17runRingI12hip_bfloat167FuncSumIS1_E11ProtoSimpleILi1ELi1ELi0ELi1ELi0ELi0EELi0ELi1ELi0EEEviiP15ncclDevWorkColl
                                        ; -- End function
	.set .L_ZN12_GLOBAL__N_17runRingI12hip_bfloat167FuncSumIS1_E11ProtoSimpleILi1ELi1ELi0ELi1ELi0ELi0EELi0ELi1ELi0EEEviiP15ncclDevWorkColl.num_vgpr, max(64, .L__assert_fail.num_vgpr)
	.set .L_ZN12_GLOBAL__N_17runRingI12hip_bfloat167FuncSumIS1_E11ProtoSimpleILi1ELi1ELi0ELi1ELi0ELi0EELi0ELi1ELi0EEEviiP15ncclDevWorkColl.num_agpr, max(0, .L__assert_fail.num_agpr)
	.set .L_ZN12_GLOBAL__N_17runRingI12hip_bfloat167FuncSumIS1_E11ProtoSimpleILi1ELi1ELi0ELi1ELi0ELi0EELi0ELi1ELi0EEEviiP15ncclDevWorkColl.numbered_sgpr, max(96, .L__assert_fail.numbered_sgpr)
	.set .L_ZN12_GLOBAL__N_17runRingI12hip_bfloat167FuncSumIS1_E11ProtoSimpleILi1ELi1ELi0ELi1ELi0ELi0EELi0ELi1ELi0EEEviiP15ncclDevWorkColl.num_named_barrier, max(0, .L__assert_fail.num_named_barrier)
	.set .L_ZN12_GLOBAL__N_17runRingI12hip_bfloat167FuncSumIS1_E11ProtoSimpleILi1ELi1ELi0ELi1ELi0ELi0EELi0ELi1ELi0EEEviiP15ncclDevWorkColl.private_seg_size, 96+max(.L__assert_fail.private_seg_size)
	.set .L_ZN12_GLOBAL__N_17runRingI12hip_bfloat167FuncSumIS1_E11ProtoSimpleILi1ELi1ELi0ELi1ELi0ELi0EELi0ELi1ELi0EEEviiP15ncclDevWorkColl.uses_vcc, or(1, .L__assert_fail.uses_vcc)
	.set .L_ZN12_GLOBAL__N_17runRingI12hip_bfloat167FuncSumIS1_E11ProtoSimpleILi1ELi1ELi0ELi1ELi0ELi0EELi0ELi1ELi0EEEviiP15ncclDevWorkColl.uses_flat_scratch, or(0, .L__assert_fail.uses_flat_scratch)
	.set .L_ZN12_GLOBAL__N_17runRingI12hip_bfloat167FuncSumIS1_E11ProtoSimpleILi1ELi1ELi0ELi1ELi0ELi0EELi0ELi1ELi0EEEviiP15ncclDevWorkColl.has_dyn_sized_stack, or(0, .L__assert_fail.has_dyn_sized_stack)
	.set .L_ZN12_GLOBAL__N_17runRingI12hip_bfloat167FuncSumIS1_E11ProtoSimpleILi1ELi1ELi0ELi1ELi0ELi0EELi0ELi1ELi0EEEviiP15ncclDevWorkColl.has_recursion, or(1, .L__assert_fail.has_recursion)
	.set .L_ZN12_GLOBAL__N_17runRingI12hip_bfloat167FuncSumIS1_E11ProtoSimpleILi1ELi1ELi0ELi1ELi0ELi0EELi0ELi1ELi0EEEviiP15ncclDevWorkColl.has_indirect_call, or(0, .L__assert_fail.has_indirect_call)
	.section	.AMDGPU.csdata,"",@progbits
; Function info:
; codeLenInByte = 21416
; TotalNumSgprs: 100
; NumVgprs: 64
; ScratchSize: 160
; MemoryBound: 1
	.text
	.p2align	2                               ; -- Begin function _Z45ncclDevFunc_Reduce_RING_SIMPLE_Sum_bf16_0_0_1v
	.type	_Z45ncclDevFunc_Reduce_RING_SIMPLE_Sum_bf16_0_0_1v,@function
_Z45ncclDevFunc_Reduce_RING_SIMPLE_Sum_bf16_0_0_1v: ; @_Z45ncclDevFunc_Reduce_RING_SIMPLE_Sum_bf16_0_0_1v
; %bb.0:
	s_waitcnt vmcnt(0) expcnt(0) lgkmcnt(0)
	s_mov_b32 s4, s33
	s_mov_b32 s33, s32
	s_or_saveexec_b64 s[6:7], -1
	buffer_store_dword v43, off, s[0:3], s33 offset:16 ; 4-byte Folded Spill
	s_mov_b64 exec, s[6:7]
	v_writelane_b32 v43, s4, 13
	s_addk_i32 s32, 0x800
	buffer_store_dword v40, off, s[0:3], s33 offset:12 ; 4-byte Folded Spill
	buffer_store_dword v41, off, s[0:3], s33 offset:8 ; 4-byte Folded Spill
	;; [unrolled: 1-line block ×3, first 2 shown]
	buffer_store_dword v63, off, s[0:3], s33 ; 4-byte Folded Spill
	v_writelane_b32 v43, s34, 0
	v_writelane_b32 v43, s35, 1
	;; [unrolled: 1-line block ×13, first 2 shown]
	s_trap 2
	ds_read_b32 v0, v0
	v_mov_b32_e32 v40, v31
	s_mov_b32 s39, s12
	s_mov_b64 s[48:49], s[8:9]
	s_waitcnt lgkmcnt(0)
	v_cmp_gt_i32_e32 vcc, 1, v0
	s_cbranch_vccnz .LBB3_8
; %bb.1:
	s_mov_b32 s52, 0
	v_and_b32_e32 v41, 0x3ff, v40
	v_mov_b32_e32 v42, 6
	s_branch .LBB3_3
.LBB3_2:                                ;   in Loop: Header=BB3_3 Depth=1
	s_or_b64 exec, exec, s[50:51]
	s_trap 2
	ds_read_b32 v0, v0
	s_add_i32 s52, s52, 1
	s_waitcnt lgkmcnt(0)
	v_cmp_lt_i32_e32 vcc, s52, v0
	s_cbranch_vccz .LBB3_8
.LBB3_3:                                ; =>This Inner Loop Header: Depth=1
	s_trap 2
	ds_read_b32 v0, v0
	s_cmp_eq_u32 s52, 0
	s_cbranch_scc1 .LBB3_6
; %bb.4:                                ;   in Loop: Header=BB3_3 Depth=1
	s_trap 2
	s_waitcnt lgkmcnt(0)
	ds_read_b32 v1, v0
	s_waitcnt lgkmcnt(0)
	v_xor_b32_e32 v1, v1, v0
	v_and_b32_e32 v1, 0xff0000, v1
	v_cmp_eq_u32_e32 vcc, 0, v1
	s_cbranch_vccnz .LBB3_6
; %bb.5:                                ;   in Loop: Header=BB3_3 Depth=1
	s_waitcnt vmcnt(0)
	s_barrier
	ds_read_b32 v0, v0
.LBB3_6:                                ;   in Loop: Header=BB3_3 Depth=1
	s_waitcnt lgkmcnt(0)
	v_lshlrev_b32_sdwa v1, v42, v0 dst_sel:DWORD dst_unused:UNUSED_PAD src0_sel:DWORD src1_sel:BYTE_2
	v_cmp_lt_u32_e32 vcc, v41, v1
	s_and_saveexec_b64 s[50:51], vcc
	s_cbranch_execz .LBB3_2
; %bb.7:                                ;   in Loop: Header=BB3_3 Depth=1
	s_mov_b64 s[4:5], src_shared_base
	s_getpc_b64 s[6:7]
	s_add_u32 s6, s6, _ZN12_GLOBAL__N_17runRingI12hip_bfloat167FuncSumIS1_E11ProtoSimpleILi1ELi1ELi0ELi1ELi0ELi0EELi0ELi1ELi0EEEviiP15ncclDevWorkColl@rel32@lo+4
	s_addc_u32 s7, s7, _ZN12_GLOBAL__N_17runRingI12hip_bfloat167FuncSumIS1_E11ProtoSimpleILi1ELi1ELi0ELi1ELi0ELi0EELi0ELi1ELi0EEEviiP15ncclDevWorkColl@rel32@hi+12
	s_mov_b64 s[8:9], s[48:49]
	s_mov_b32 s12, s39
	v_mov_b32_e32 v31, v40
	v_mov_b32_e32 v0, v41
	;; [unrolled: 1-line block ×3, first 2 shown]
	s_swappc_b64 s[30:31], s[6:7]
	s_branch .LBB3_2
.LBB3_8:
	buffer_load_dword v63, off, s[0:3], s33 ; 4-byte Folded Reload
	buffer_load_dword v42, off, s[0:3], s33 offset:4 ; 4-byte Folded Reload
	buffer_load_dword v41, off, s[0:3], s33 offset:8 ; 4-byte Folded Reload
	;; [unrolled: 1-line block ×3, first 2 shown]
	v_readlane_b32 s30, v43, 11
	v_readlane_b32 s31, v43, 12
	;; [unrolled: 1-line block ×13, first 2 shown]
	s_mov_b32 s32, s33
	v_readlane_b32 s4, v43, 13
	s_or_saveexec_b64 s[6:7], -1
	buffer_load_dword v43, off, s[0:3], s33 offset:16 ; 4-byte Folded Reload
	s_mov_b64 exec, s[6:7]
	s_mov_b32 s33, s4
	s_waitcnt vmcnt(0)
	s_setpc_b64 s[30:31]
.Lfunc_end3:
	.size	_Z45ncclDevFunc_Reduce_RING_SIMPLE_Sum_bf16_0_0_1v, .Lfunc_end3-_Z45ncclDevFunc_Reduce_RING_SIMPLE_Sum_bf16_0_0_1v
                                        ; -- End function
	.set .L_Z45ncclDevFunc_Reduce_RING_SIMPLE_Sum_bf16_0_0_1v.num_vgpr, max(64, .L_ZN12_GLOBAL__N_17runRingI12hip_bfloat167FuncSumIS1_E11ProtoSimpleILi1ELi1ELi0ELi1ELi0ELi0EELi0ELi1ELi0EEEviiP15ncclDevWorkColl.num_vgpr)
	.set .L_Z45ncclDevFunc_Reduce_RING_SIMPLE_Sum_bf16_0_0_1v.num_agpr, max(0, .L_ZN12_GLOBAL__N_17runRingI12hip_bfloat167FuncSumIS1_E11ProtoSimpleILi1ELi1ELi0ELi1ELi0ELi0EELi0ELi1ELi0EEEviiP15ncclDevWorkColl.num_agpr)
	.set .L_Z45ncclDevFunc_Reduce_RING_SIMPLE_Sum_bf16_0_0_1v.numbered_sgpr, max(53, .L_ZN12_GLOBAL__N_17runRingI12hip_bfloat167FuncSumIS1_E11ProtoSimpleILi1ELi1ELi0ELi1ELi0ELi0EELi0ELi1ELi0EEEviiP15ncclDevWorkColl.numbered_sgpr)
	.set .L_Z45ncclDevFunc_Reduce_RING_SIMPLE_Sum_bf16_0_0_1v.num_named_barrier, max(0, .L_ZN12_GLOBAL__N_17runRingI12hip_bfloat167FuncSumIS1_E11ProtoSimpleILi1ELi1ELi0ELi1ELi0ELi0EELi0ELi1ELi0EEEviiP15ncclDevWorkColl.num_named_barrier)
	.set .L_Z45ncclDevFunc_Reduce_RING_SIMPLE_Sum_bf16_0_0_1v.private_seg_size, 32+max(.L_ZN12_GLOBAL__N_17runRingI12hip_bfloat167FuncSumIS1_E11ProtoSimpleILi1ELi1ELi0ELi1ELi0ELi0EELi0ELi1ELi0EEEviiP15ncclDevWorkColl.private_seg_size)
	.set .L_Z45ncclDevFunc_Reduce_RING_SIMPLE_Sum_bf16_0_0_1v.uses_vcc, or(1, .L_ZN12_GLOBAL__N_17runRingI12hip_bfloat167FuncSumIS1_E11ProtoSimpleILi1ELi1ELi0ELi1ELi0ELi0EELi0ELi1ELi0EEEviiP15ncclDevWorkColl.uses_vcc)
	.set .L_Z45ncclDevFunc_Reduce_RING_SIMPLE_Sum_bf16_0_0_1v.uses_flat_scratch, or(0, .L_ZN12_GLOBAL__N_17runRingI12hip_bfloat167FuncSumIS1_E11ProtoSimpleILi1ELi1ELi0ELi1ELi0ELi0EELi0ELi1ELi0EEEviiP15ncclDevWorkColl.uses_flat_scratch)
	.set .L_Z45ncclDevFunc_Reduce_RING_SIMPLE_Sum_bf16_0_0_1v.has_dyn_sized_stack, or(0, .L_ZN12_GLOBAL__N_17runRingI12hip_bfloat167FuncSumIS1_E11ProtoSimpleILi1ELi1ELi0ELi1ELi0ELi0EELi0ELi1ELi0EEEviiP15ncclDevWorkColl.has_dyn_sized_stack)
	.set .L_Z45ncclDevFunc_Reduce_RING_SIMPLE_Sum_bf16_0_0_1v.has_recursion, or(1, .L_ZN12_GLOBAL__N_17runRingI12hip_bfloat167FuncSumIS1_E11ProtoSimpleILi1ELi1ELi0ELi1ELi0ELi0EELi0ELi1ELi0EEEviiP15ncclDevWorkColl.has_recursion)
	.set .L_Z45ncclDevFunc_Reduce_RING_SIMPLE_Sum_bf16_0_0_1v.has_indirect_call, or(0, .L_ZN12_GLOBAL__N_17runRingI12hip_bfloat167FuncSumIS1_E11ProtoSimpleILi1ELi1ELi0ELi1ELi0ELi0EELi0ELi1ELi0EEEviiP15ncclDevWorkColl.has_indirect_call)
	.section	.AMDGPU.csdata,"",@progbits
; Function info:
; codeLenInByte = 592
; TotalNumSgprs: 100
; NumVgprs: 64
; ScratchSize: 192
; MemoryBound: 0
	.text
	.p2align	2                               ; -- Begin function _ZN12_GLOBAL__N_17runRingI12hip_bfloat167FuncSumIS1_E11ProtoSimpleILi1ELi1ELi0ELi1ELi0ELi0EELi0ELi1ELi1EEEviiP15ncclDevWorkColl
	.type	_ZN12_GLOBAL__N_17runRingI12hip_bfloat167FuncSumIS1_E11ProtoSimpleILi1ELi1ELi0ELi1ELi0ELi0EELi0ELi1ELi1EEEviiP15ncclDevWorkColl,@function
_ZN12_GLOBAL__N_17runRingI12hip_bfloat167FuncSumIS1_E11ProtoSimpleILi1ELi1ELi0ELi1ELi0ELi0EELi0ELi1ELi1EEEviiP15ncclDevWorkColl: ; @_ZN12_GLOBAL__N_17runRingI12hip_bfloat167FuncSumIS1_E11ProtoSimpleILi1ELi1ELi0ELi1ELi0ELi0EELi0ELi1ELi1EEEviiP15ncclDevWorkColl
; %bb.0:
	s_waitcnt vmcnt(0) expcnt(0) lgkmcnt(0)
	s_mov_b32 s4, s33
	s_mov_b32 s33, s32
	s_or_saveexec_b64 s[6:7], -1
	buffer_store_dword v63, off, s[0:3], s33 offset:248 ; 4-byte Folded Spill
	s_mov_b64 exec, s[6:7]
	v_writelane_b32 v63, s4, 12
	s_addk_i32 s32, 0x4000
	buffer_store_dword v40, off, s[0:3], s33 offset:56 ; 4-byte Folded Spill
	buffer_store_dword v41, off, s[0:3], s33 offset:52 ; 4-byte Folded Spill
	;; [unrolled: 1-line block ×14, first 2 shown]
	buffer_store_dword v62, off, s[0:3], s33 ; 4-byte Folded Spill
	v_writelane_b32 v63, s34, 0
	v_writelane_b32 v63, s35, 1
	;; [unrolled: 1-line block ×12, first 2 shown]
	buffer_store_dword v31, off, s[0:3], s33 offset:192 ; 4-byte Folded Spill
	v_mov_b32_e32 v24, v1
	s_trap 2
	ds_read_b64 v[14:15], v0
	ds_read_b32 v1, v0
	v_mov_b32_e32 v27, v0
	flat_load_ushort v16, v[2:3] offset:8
	flat_load_dwordx2 v[8:9], v[2:3]
                                        ; implicit-def: $vgpr17_vgpr18
                                        ; implicit-def: $vgpr28_vgpr29
                                        ; implicit-def: $vgpr6_vgpr7
                                        ; kill: killed $vgpr6_vgpr7
	s_waitcnt lgkmcnt(0)
	v_ashrrev_i32_e32 v5, 31, v15
	v_mov_b32_e32 v4, v15
	v_lshlrev_b64 v[4:5], 2, v[4:5]
	v_add_co_u32_e32 v0, vcc, v14, v4
	v_addc_co_u32_e32 v5, vcc, v15, v5, vcc
	v_add_co_u32_e32 v4, vcc, -4, v0
	v_addc_co_u32_e32 v5, vcc, -1, v5, vcc
	flat_load_dword v23, v[4:5]
	s_waitcnt vmcnt(0)
	v_mov_b32_e32 v15, v9
	v_cmp_ne_u32_sdwa s[4:5], v1, v8 src0_sel:DWORD src1_sel:BYTE_0
	s_and_saveexec_b64 s[6:7], s[4:5]
	s_xor_b64 s[4:5], exec, s[6:7]
	s_cbranch_execz .LBB4_6
; %bb.1:
	v_not_b32_sdwa v0, v8 dst_sel:DWORD dst_unused:UNUSED_PAD src0_sel:BYTE_0
	v_cmp_ne_u32_sdwa s[6:7], v1, v8 src0_sel:DWORD src1_sel:BYTE_1
                                        ; implicit-def: $vgpr17_vgpr18
                                        ; implicit-def: $vgpr28_vgpr29
                                        ; implicit-def: $vgpr6_vgpr7
                                        ; kill: killed $vgpr6_vgpr7
	s_and_saveexec_b64 s[10:11], s[6:7]
	s_xor_b64 s[6:7], exec, s[10:11]
	s_cbranch_execz .LBB4_3
; %bb.2:
	flat_load_dwordx4 v[4:7], v[2:3] offset:72
	flat_load_dwordx2 v[8:9], v[2:3] offset:96
	v_add_u32_e32 v0, v1, v0
	v_ashrrev_i32_e32 v1, 31, v0
	s_waitcnt vmcnt(0) lgkmcnt(0)
	v_mul_lo_u32 v1, v6, v1
	v_mad_u64_u32 v[4:5], s[10:11], v6, v0, v[4:5]
	v_mul_lo_u32 v0, v7, v0
	v_mov_b32_e32 v29, v7
	v_lshrrev_b64 v[17:18], 13, v[8:9]
	v_mov_b32_e32 v28, v6
	v_add3_u32 v5, v0, v5, v1
	buffer_store_dword v4, off, s[0:3], s33 offset:160 ; 4-byte Folded Spill
	s_nop 0
	buffer_store_dword v5, off, s[0:3], s33 offset:164 ; 4-byte Folded Spill
                                        ; implicit-def: $vgpr8
                                        ; implicit-def: $vgpr0
.LBB4_3:
	s_andn2_saveexec_b64 s[6:7], s[6:7]
	s_cbranch_execz .LBB4_5
; %bb.4:
	flat_load_dwordx4 v[9:12], v[2:3] offset:72
	flat_load_dwordx4 v[28:31], v[2:3] offset:88
	v_add_u32_sdwa v0, v8, v0 dst_sel:DWORD dst_unused:UNUSED_PAD src0_sel:BYTE_1 src1_sel:DWORD
	v_ashrrev_i32_e32 v1, 31, v0
	s_waitcnt vmcnt(0) lgkmcnt(0)
	v_mul_lo_u32 v1, v11, v1
	v_mad_u64_u32 v[8:9], s[10:11], v11, v0, v[9:10]
	v_mul_lo_u32 v0, v12, v0
	v_lshrrev_b32_e32 v17, 2, v31
	v_add3_u32 v9, v0, v9, v1
	buffer_store_dword v8, off, s[0:3], s33 offset:160 ; 4-byte Folded Spill
	s_nop 0
	buffer_store_dword v9, off, s[0:3], s33 offset:164 ; 4-byte Folded Spill
.LBB4_5:
	s_or_b64 exec, exec, s[6:7]
.LBB4_6:
	s_andn2_saveexec_b64 s[4:5], s[4:5]
	s_cbranch_execz .LBB4_8
; %bb.7:
	flat_load_dwordx2 v[0:1], v[2:3] offset:96
	flat_load_dwordx2 v[28:29], v[2:3] offset:72
	s_waitcnt vmcnt(0) lgkmcnt(0)
	v_lshlrev_b64 v[17:18], 8, v[0:1]
	v_mov_b32_e32 v0, 0
	v_mov_b32_e32 v1, 0
	buffer_store_dword v0, off, s[0:3], s33 offset:160 ; 4-byte Folded Spill
	s_nop 0
	buffer_store_dword v1, off, s[0:3], s33 offset:164 ; 4-byte Folded Spill
.LBB4_8:
	s_or_b64 exec, exec, s[4:5]
	s_trap 2
	ds_read_b64 v[6:7], v0
	s_waitcnt lgkmcnt(0)
	v_cmp_ne_u32_e32 vcc, -1, v6
	v_cndmask_b32_e64 v1, 0, 1, vcc
	v_cmp_ne_u32_e32 vcc, -1, v7
	v_addc_co_u32_e64 v0, s[4:5], 0, v1, vcc
	v_lshlrev_b32_e32 v6, 1, v0
	v_cmp_le_u32_e64 s[4:5], v6, v24
	s_and_saveexec_b64 s[6:7], s[4:5]
	s_xor_b64 s[24:25], exec, s[6:7]
	s_cbranch_execz .LBB4_1219
; %bb.9:
	flat_load_dwordx4 v[10:13], v[2:3] offset:16
	flat_load_dwordx2 v[18:19], v[2:3] offset:104
	s_trap 2
	s_load_dword s4, s[8:9], 0x0
	v_mov_b32_e32 v2, 0
	v_mov_b32_e32 v62, 4
	s_waitcnt lgkmcnt(0)
	s_cmp_lt_u32 s12, s4
	s_cselect_b32 s4, 12, 18
	s_add_u32 s4, s8, s4
	s_addc_u32 s5, s9, 0
	global_load_ushort v2, v2, s[4:5]
	v_cmp_ge_i32_e64 s[4:5], v27, v1
	s_waitcnt vmcnt(0)
	buffer_store_dword v2, off, s[0:3], s33 offset:196 ; 4-byte Folded Spill
	ds_read_b32 v2, v0
	s_waitcnt lgkmcnt(0)
	v_readfirstlane_b32 s12, v2
	s_and_saveexec_b64 s[6:7], s[4:5]
	s_cbranch_execz .LBB4_19
; %bb.10:
	v_cmp_ge_u32_e64 s[4:5], v27, v0
                                        ; implicit-def: $vgpr62
	s_and_saveexec_b64 s[10:11], s[4:5]
	s_xor_b64 s[4:5], exec, s[10:11]
	s_cbranch_execz .LBB4_16
; %bb.11:
	v_cndmask_b32_e64 v2, 0, 1, vcc
	v_sub_u32_e32 v2, v24, v2
	v_cmp_ge_u32_e32 vcc, v27, v2
	s_and_saveexec_b64 s[10:11], vcc
	s_xor_b64 s[10:11], exec, s[10:11]
; %bb.12:
                                        ; implicit-def: $vgpr0
; %bb.13:
	s_or_saveexec_b64 s[10:11], s[10:11]
	v_mov_b32_e32 v62, 16
	s_xor_b64 exec, exec, s[10:11]
; %bb.14:
	v_sub_u32_e32 v0, v24, v0
	v_cmp_lt_i32_e32 vcc, v27, v0
	v_cndmask_b32_e64 v62, 32, 0, vcc
; %bb.15:
	s_or_b64 exec, exec, s[10:11]
.LBB4_16:
	s_andn2_saveexec_b64 s[4:5], s[4:5]
; %bb.17:
	v_mov_b32_e32 v62, 8
; %bb.18:
	s_or_b64 exec, exec, s[4:5]
.LBB4_19:
	s_or_b64 exec, exec, s[6:7]
	v_and_b32_e32 v0, 36, v62
	v_cmp_ne_u32_e32 vcc, 0, v0
	v_mov_b32_e32 v20, -1
	s_and_saveexec_b64 s[4:5], vcc
	s_cbranch_execz .LBB4_21
; %bb.20:
	s_trap 2
	ds_read_b32 v20, v0
.LBB4_21:
	s_or_b64 exec, exec, s[4:5]
	v_and_b32_e32 v0, 24, v62
	v_cmp_ne_u32_e64 s[4:5], 0, v0
	s_and_saveexec_b64 s[6:7], s[4:5]
	s_cbranch_execz .LBB4_23
; %bb.22:
	s_trap 2
	s_waitcnt lgkmcnt(0)
	ds_read_b32 v20, v0
.LBB4_23:
	s_or_b64 exec, exec, s[6:7]
	v_lshrrev_b64 v[2:3], 31, v[15:16]
	v_mov_b32_e32 v25, 0
	v_mov_b32_e32 v4, 0
	v_and_b32_e32 v0, 3, v2
                                        ; implicit-def: $vgpr2_vgpr3
	v_mov_b32_e32 v26, 0
	v_mov_b32_e32 v5, 0
                                        ; kill: killed $vgpr2_vgpr3
                                        ; implicit-def: $vgpr2
                                        ; kill: killed $vgpr2
                                        ; implicit-def: $vgpr36_vgpr37
                                        ; implicit-def: $vgpr2_vgpr3
                                        ; kill: killed $vgpr2_vgpr3
                                        ; implicit-def: $vgpr32_vgpr33
	s_and_saveexec_b64 s[4:5], vcc
	s_cbranch_execz .LBB4_33
; %bb.24:
	s_trap 2
	ds_read_b64 v[2:3], v0
	s_waitcnt lgkmcnt(1)
	v_ashrrev_i32_e32 v21, 31, v20
	v_lshlrev_b64 v[6:7], 3, v[20:21]
	s_movk_i32 s6, 0xa8
	s_waitcnt lgkmcnt(0)
	v_add_co_u32_e32 v2, vcc, v2, v6
	v_addc_co_u32_e32 v3, vcc, v3, v7, vcc
	flat_load_dwordx2 v[2:3], v[2:3]
	v_and_b32_e32 v6, 0xffff, v0
	s_waitcnt vmcnt(0) lgkmcnt(0)
	v_mad_u64_u32 v[21:22], s[6:7], v6, s6, v[2:3]
	flat_load_dword v2, v[21:22] offset:640
	s_waitcnt vmcnt(0) lgkmcnt(0)
	v_cmp_eq_u32_e32 vcc, 1, v2
                                        ; implicit-def: $vgpr2_vgpr3
                                        ; kill: killed $vgpr2_vgpr3
	s_and_saveexec_b64 s[6:7], vcc
	s_cbranch_execz .LBB4_26
; %bb.25:
	flat_load_dwordx2 v[6:7], v[21:22] offset:648
	v_or_b32_e32 v62, 0x2000, v62
	s_waitcnt vmcnt(0) lgkmcnt(0)
	flat_load_dwordx2 v[2:3], v[6:7]
	s_trap 2
	s_waitcnt vmcnt(0) lgkmcnt(0)
	ds_write_b64 v0, v[2:3]
	flat_load_dwordx2 v[2:3], v[6:7] offset:8
	s_waitcnt vmcnt(0) lgkmcnt(0)
	ds_write_b64 v0, v[2:3]
	buffer_store_dword v6, off, s[0:3], s33 offset:232 ; 4-byte Folded Spill
	s_nop 0
	buffer_store_dword v7, off, s[0:3], s33 offset:236 ; 4-byte Folded Spill
	flat_load_dwordx2 v[2:3], v[6:7] offset:16
	s_waitcnt vmcnt(0) lgkmcnt(0)
	ds_write_b64 v0, v[2:3]
.LBB4_26:
	s_or_b64 exec, exec, s[6:7]
	flat_load_dwordx2 v[6:7], v[21:22] offset:608
	v_and_b32_e32 v2, 32, v62
	v_cmp_ne_u32_e32 vcc, 0, v2
                                        ; implicit-def: $vgpr32_vgpr33
	s_and_saveexec_b64 s[6:7], vcc
	s_cbranch_execz .LBB4_28
; %bb.27:
	flat_load_dwordx2 v[32:33], v[21:22] offset:560
	s_waitcnt vmcnt(0) lgkmcnt(0)
	flat_store_dwordx2 v[32:33], v[6:7]
.LBB4_28:
	s_or_b64 exec, exec, s[6:7]
	v_add_co_u32_e32 v25, vcc, 0x1f8, v21
	v_addc_co_u32_e32 v26, vcc, 0, v22, vcc
	v_and_b32_e32 v2, 4, v62
	v_mov_b32_e32 v4, 0
	v_mov_b32_e32 v5, 0
	v_cmp_ne_u32_e32 vcc, 0, v2
                                        ; implicit-def: $vgpr2
                                        ; kill: killed $vgpr2
                                        ; implicit-def: $vgpr36_vgpr37
                                        ; implicit-def: $vgpr2_vgpr3
                                        ; kill: killed $vgpr2_vgpr3
	s_and_saveexec_b64 s[6:7], vcc
	s_cbranch_execz .LBB4_32
; %bb.29:
	v_and_b32_e32 v2, 0x800, v62
	v_cmp_eq_u32_e32 vcc, 0, v2
	s_and_saveexec_b64 s[10:11], vcc
	s_cbranch_execz .LBB4_31
; %bb.30:
	s_trap 2
	ds_write_b64 v0, v[25:26]
.LBB4_31:
	s_or_b64 exec, exec, s[10:11]
	flat_load_dwordx2 v[32:33], v[21:22] offset:552
	v_or_b32_e32 v3, 0x100, v62
	s_waitcnt vmcnt(0) lgkmcnt(0)
	flat_load_dwordx2 v[36:37], v[32:33] glc
	flat_load_dword v2, v[21:22] offset:576
	flat_load_dwordx2 v[4:5], v[21:22] offset:600
	s_nop 0
	flat_load_dwordx2 v[21:22], v[21:22] offset:520
	s_waitcnt vmcnt(0) lgkmcnt(0)
	buffer_store_dword v21, off, s[0:3], s33 offset:128 ; 4-byte Folded Spill
	s_nop 0
	buffer_store_dword v22, off, s[0:3], s33 offset:132 ; 4-byte Folded Spill
	v_cmp_eq_u64_e32 vcc, 0, v[4:5]
	v_ashrrev_i32_e32 v2, 1, v2
	v_cndmask_b32_e32 v62, v3, v62, vcc
	buffer_store_dword v2, off, s[0:3], s33 offset:168 ; 4-byte Folded Spill
.LBB4_32:
	s_or_b64 exec, exec, s[6:7]
.LBB4_33:
	s_or_b64 exec, exec, s[4:5]
	v_and_b32_e32 v2, 24, v62
	v_cmp_ne_u32_e32 vcc, 0, v2
                                        ; implicit-def: $vgpr2_vgpr3
                                        ; kill: killed $vgpr2_vgpr3
	s_and_saveexec_b64 s[4:5], vcc
	s_cbranch_execz .LBB4_41
; %bb.34:
	s_trap 2
	ds_read_b64 v[2:3], v0
	s_waitcnt lgkmcnt(0)
	v_ashrrev_i32_e32 v21, 31, v20
	s_waitcnt vmcnt(0)
	v_lshlrev_b64 v[6:7], 3, v[20:21]
	v_and_b32_e32 v0, 0xffff, v0
	s_movk_i32 s6, 0xa8
	v_add_co_u32_e32 v2, vcc, v2, v6
	v_addc_co_u32_e32 v3, vcc, v3, v7, vcc
	flat_load_dwordx2 v[2:3], v[2:3]
	s_waitcnt vmcnt(0) lgkmcnt(0)
	v_mad_u64_u32 v[25:26], s[6:7], v0, s6, v[2:3]
	v_or_b32_e32 v0, 0x100, v62
                                        ; implicit-def: $vgpr2_vgpr3
                                        ; kill: killed $vgpr2_vgpr3
	flat_load_dwordx4 v[4:7], v[25:26] offset:96
	s_waitcnt vmcnt(0) lgkmcnt(0)
	v_cmp_eq_u64_e32 vcc, 0, v[4:5]
	v_cndmask_b32_e32 v62, v0, v62, vcc
	v_and_b32_e32 v0, 16, v62
	v_cmp_ne_u32_e32 vcc, 0, v0
	s_and_saveexec_b64 s[6:7], vcc
	s_cbranch_execz .LBB4_36
; %bb.35:
	flat_load_dwordx2 v[32:33], v[25:26] offset:48
	flat_load_dwordx2 v[2:3], v[25:26] offset:120
	s_waitcnt vmcnt(0) lgkmcnt(0)
	buffer_store_dword v2, off, s[0:3], s33 offset:172 ; 4-byte Folded Spill
	s_nop 0
	buffer_store_dword v3, off, s[0:3], s33 offset:176 ; 4-byte Folded Spill
	flat_load_dwordx2 v[2:3], v[25:26] offset:16
	s_waitcnt vmcnt(0) lgkmcnt(0)
	buffer_store_dword v2, off, s[0:3], s33 offset:128 ; 4-byte Folded Spill
	s_nop 0
	buffer_store_dword v3, off, s[0:3], s33 offset:132 ; 4-byte Folded Spill
.LBB4_36:
	s_or_b64 exec, exec, s[6:7]
	v_and_b32_e32 v0, 8, v62
	v_cmp_ne_u32_e32 vcc, 0, v0
	s_and_saveexec_b64 s[6:7], vcc
	s_cbranch_execz .LBB4_40
; %bb.37:
	v_and_b32_e32 v0, 0x800, v62
	v_cmp_eq_u32_e32 vcc, 0, v0
	s_and_saveexec_b64 s[10:11], vcc
	s_cbranch_execz .LBB4_39
; %bb.38:
	s_trap 2
	ds_write_b64 v0, v[25:26]
.LBB4_39:
	s_or_b64 exec, exec, s[10:11]
	flat_load_dwordx2 v[32:33], v[25:26] offset:56
	s_waitcnt vmcnt(0) lgkmcnt(0)
	flat_load_dwordx2 v[36:37], v[32:33] glc
	flat_load_dword v0, v[25:26] offset:72
	flat_load_dwordx2 v[2:3], v[25:26] offset:16
	s_waitcnt vmcnt(0) lgkmcnt(0)
	buffer_store_dword v2, off, s[0:3], s33 offset:128 ; 4-byte Folded Spill
	s_nop 0
	buffer_store_dword v3, off, s[0:3], s33 offset:132 ; 4-byte Folded Spill
	v_ashrrev_i32_e32 v0, 1, v0
	buffer_store_dword v0, off, s[0:3], s33 offset:168 ; 4-byte Folded Spill
.LBB4_40:
	s_or_b64 exec, exec, s[6:7]
.LBB4_41:
	s_or_b64 exec, exec, s[4:5]
	v_cmp_eq_u32_e64 s[4:5], 0, v27
	s_and_saveexec_b64 s[6:7], s[4:5]
	s_cbranch_execz .LBB4_43
; %bb.42:
	v_mov_b32_e32 v2, v12
	v_mov_b32_e32 v3, v13
	ds_write2_b64 v0, v[2:3], v[10:11] offset1:1
	v_mov_b32_e32 v2, 0
	v_mov_b32_e32 v3, v2
	s_trap 2
	ds_write_b64 v0, v[2:3]
	ds_write_b64 v0, v[18:19]
.LBB4_43:
	s_or_b64 exec, exec, s[6:7]
	s_ashr_i32 s6, s12, 31
	s_lshr_b32 s6, s6, 29
	s_add_i32 s12, s12, s6
	v_and_b32_e32 v30, 0x1fffff00, v17
	v_mov_b32_e32 v31, 0
	s_ashr_i32 s30, s12, 4
	v_bfe_u32 v0, v15, 1, 30
	v_cmp_ne_u32_e32 vcc, v23, v0
                                        ; implicit-def: $vgpr38_vgpr39
	s_mov_b64 s[6:7], exec
	s_and_b64 s[10:11], s[6:7], vcc
	s_xor_b64 s[26:27], s[10:11], s[6:7]
	buffer_store_dword v24, off, s[0:3], s33 offset:188 ; 4-byte Folded Spill
	s_mov_b64 exec, s[10:11]
	s_cbranch_execz .LBB4_981
; %bb.44:
	v_cmp_ne_u32_e32 vcc, v14, v0
                                        ; implicit-def: $vgpr38_vgpr39
	s_and_saveexec_b64 s[6:7], vcc
	s_xor_b64 s[28:29], exec, s[6:7]
	s_cbranch_execz .LBB4_518
; %bb.45:
	v_mov_b32_e32 v38, 0
	v_cmp_ne_u64_e32 vcc, 0, v[28:29]
	v_mov_b32_e32 v39, 0
	s_and_saveexec_b64 s[40:41], vcc
	s_cbranch_execz .LBB4_517
; %bb.46:
	buffer_store_dword v25, off, s[0:3], s33 offset:220 ; 4-byte Folded Spill
	s_nop 0
	buffer_store_dword v26, off, s[0:3], s33 offset:224 ; 4-byte Folded Spill
	s_trap 2
	buffer_load_dword v0, off, s[0:3], s33 offset:168 ; 4-byte Folded Reload
	v_mov_b32_e32 v14, v28
	v_mov_b32_e32 v15, v29
	v_lshrrev_b32_e32 v28, 6, v24
	s_lshr_b32 s18, s33, 6
	v_lshlrev_b32_e32 v54, 10, v28
	s_add_i32 s34, s18, 0x70
	s_lshr_b32 s18, s33, 6
	v_add_u32_e32 v55, 0xfffffc00, v54
	s_movk_i32 s36, 0x400
	s_add_i32 s35, s18, 0x50
	v_ashrrev_i32_e32 v40, 31, v55
	s_lshr_b32 s6, s30, 27
	s_waitcnt vmcnt(0) lgkmcnt(0)
	v_mov_b32_e32 v9, v7
	s_add_i32 s6, s30, s6
	v_cmp_eq_u32_e32 vcc, 64, v24
	v_mov_b32_e32 v12, 0
	v_mov_b32_e32 v38, 0
	;; [unrolled: 1-line block ×5, first 2 shown]
	s_ashr_i32 s31, s6, 5
	v_cmp_ge_i32_e64 s[6:7], v27, v24
	v_cmp_ne_u32_e64 s[10:11], 64, v24
	v_mov_b32_e32 v10, 0
	s_mov_b64 s[44:45], 0
	v_mov_b32_e32 v13, 0
	v_mov_b32_e32 v39, 0
	s_movk_i32 s39, 0x108
	v_mov_b32_e32 v20, 1
	s_xor_b64 s[46:47], vcc, -1
	s_mov_b32 s48, 0x7f800000
	s_movk_i32 s49, 0x7fff
	s_mov_b32 s50, 0xffff0000
	v_mov_b32_e32 v21, 0xc8
	v_mov_b32_e32 v22, 0x90
	v_ashrrev_i32_e32 v0, 31, v0
	buffer_store_dword v0, off, s[0:3], s33 offset:184 ; 4-byte Folded Spill
	buffer_load_dword v0, off, s[0:3], s33 offset:196 ; 4-byte Folded Reload
	s_waitcnt vmcnt(0)
	v_cmp_ne_u32_sdwa s[42:43], v24, v0 src0_sel:DWORD src1_sel:WORD_0
	buffer_load_dword v0, off, s[0:3], s33 offset:192 ; 4-byte Folded Reload
	s_waitcnt vmcnt(0)
	v_and_b32_e32 v0, 63, v0
	v_cmp_eq_u32_e64 s[12:13], 0, v0
	v_ashrrev_i32_e32 v0, 31, v27
	v_lshrrev_b32_e32 v0, 26, v0
	v_add_u32_e32 v0, v27, v0
	v_and_b32_e32 v2, 0xffffffc0, v0
	v_ashrrev_i32_e32 v0, 6, v0
	v_sub_u32_e32 v2, v27, v2
	v_sub_u32_e32 v0, 0, v0
	buffer_store_dword v2, off, s[0:3], s33 offset:204 ; 4-byte Folded Spill
	buffer_store_dword v0, off, s[0:3], s33 offset:228 ; 4-byte Folded Spill
	;; [unrolled: 1-line block ×3, first 2 shown]
	v_lshlrev_b32_e32 v0, 4, v27
	buffer_store_dword v0, off, s[0:3], s33 offset:208 ; 4-byte Folded Spill
	v_ashrrev_i32_e32 v0, 31, v0
	buffer_store_dword v0, off, s[0:3], s33 offset:212 ; 4-byte Folded Spill
	v_add_co_u32_e64 v0, s[18:19], s36, v55
	buffer_store_dword v0, off, s[0:3], s33 offset:136 ; 4-byte Folded Spill
	v_addc_co_u32_e64 v0, s[18:19], 0, v40, s[18:19]
	s_lshr_b32 s18, s33, 6
	buffer_store_dword v0, off, s[0:3], s33 offset:152 ; 4-byte Folded Spill
	s_add_i32 s37, s18, 0x70
	s_lshr_b32 s18, s33, 6
	v_mov_b32_e32 v0, 0xfffffe00
	s_add_i32 s38, s18, 0x50
	v_lshl_add_u32 v43, v28, 9, v0
	s_movk_i32 s18, 0x200
	v_ashrrev_i32_e32 v44, 31, v43
	v_add_co_u32_e64 v45, s[18:19], s18, v43
	v_addc_co_u32_e64 v46, s[18:19], 0, v44, s[18:19]
	v_lshlrev_b32_e32 v0, 7, v28
	v_add_u32_e32 v56, 0xffffff80, v0
	s_movk_i32 s18, 0x80
	v_ashrrev_i32_e32 v57, 31, v56
	v_add_co_u32_e64 v0, s[18:19], s18, v56
	buffer_store_dword v0, off, s[0:3], s33 offset:240 ; 4-byte Folded Spill
	v_addc_co_u32_e64 v0, s[18:19], 0, v57, s[18:19]
	buffer_store_dword v0, off, s[0:3], s33 offset:244 ; 4-byte Folded Spill
	v_cmp_le_i32_e64 s[14:15], v2, v1
	v_cmp_lt_i32_e64 s[16:17], v2, v1
	buffer_load_dword v0, off, s[0:3], s33 offset:172 ; 4-byte Folded Reload
	buffer_load_dword v1, off, s[0:3], s33 offset:176 ; 4-byte Folded Reload
	s_waitcnt vmcnt(0)
	v_cmp_eq_u64_e64 s[18:19], 0, v[0:1]
	s_branch .LBB4_49
.LBB4_47:                               ;   in Loop: Header=BB4_49 Depth=1
	s_or_b64 exec, exec, s[20:21]
.LBB4_48:                               ;   in Loop: Header=BB4_49 Depth=1
	s_or_b64 exec, exec, s[22:23]
	v_mov_b32_e32 v30, v48
	v_add_co_u32_e32 v12, vcc, v12, v30
	v_mov_b32_e32 v15, v5
	v_addc_co_u32_e32 v13, vcc, 0, v13, vcc
	v_mov_b32_e32 v14, v4
	v_cmp_ge_u64_e32 vcc, v[12:13], v[14:15]
	v_mov_b32_e32 v31, v49
	s_or_b64 s[44:45], vcc, s[44:45]
	s_andn2_b64 exec, exec, s[44:45]
	s_cbranch_execz .LBB4_516
.LBB4_49:                               ; =>This Loop Header: Depth=1
                                        ;     Child Loop BB4_58 Depth 2
                                        ;     Child Loop BB4_86 Depth 2
	;; [unrolled: 1-line block ×4, first 2 shown]
                                        ;       Child Loop BB4_131 Depth 3
                                        ;       Child Loop BB4_168 Depth 3
                                        ;     Child Loop BB4_243 Depth 2
                                        ;       Child Loop BB4_244 Depth 3
                                        ;       Child Loop BB4_281 Depth 3
                                        ;     Child Loop BB4_358 Depth 2
                                        ;     Child Loop BB4_417 Depth 2
                                        ;       Child Loop BB4_418 Depth 3
                                        ;       Child Loop BB4_427 Depth 3
                                        ;     Child Loop BB4_446 Depth 2
                                        ;     Child Loop BB4_471 Depth 2
	;; [unrolled: 1-line block ×3, first 2 shown]
	v_sub_co_u32_e32 v0, vcc, v14, v12
	v_subb_co_u32_e32 v1, vcc, v15, v13, vcc
	v_cmp_lt_u64_e32 vcc, v[30:31], v[0:1]
	v_mov_b32_e32 v4, v14
	v_mov_b32_e32 v5, v15
	v_cndmask_b32_e64 v15, v1, 0, vcc
	v_cndmask_b32_e32 v14, v0, v30, vcc
	v_cmp_eq_u64_e32 vcc, 0, v[14:15]
	v_add_u32_e32 v0, 15, v14
	v_mov_b32_e32 v49, v31
	v_and_b32_e32 v0, 0x3ffffff0, v0
	s_or_b64 s[56:57], s[6:7], vcc
	v_mov_b32_e32 v48, v30
	v_max_i32_e32 v31, s31, v0
	s_xor_b64 s[20:21], s[56:57], -1
	v_mov_b32_e32 v0, 0
	s_and_saveexec_b64 s[58:59], s[20:21]
	s_cbranch_execz .LBB4_464
; %bb.50:                               ;   in Loop: Header=BB4_49 Depth=1
	s_and_saveexec_b64 s[20:21], s[4:5]
	s_cbranch_execz .LBB4_52
; %bb.51:                               ;   in Loop: Header=BB4_49 Depth=1
	s_trap 2
	ds_read_b64 v[0:1], v0
	buffer_load_dword v2, off, s[0:3], s33 offset:160 ; 4-byte Folded Reload
	buffer_load_dword v3, off, s[0:3], s33 offset:164 ; 4-byte Folded Reload
	v_mov_b32_e32 v11, v10
	s_waitcnt vmcnt(0)
	v_lshlrev_b64 v[2:3], 1, v[2:3]
	s_waitcnt lgkmcnt(0)
	v_add_co_u32_e32 v2, vcc, v0, v2
	v_addc_co_u32_e32 v3, vcc, v1, v3, vcc
	v_lshlrev_b64 v[0:1], 1, v[12:13]
	v_add_co_u32_e32 v0, vcc, v2, v0
	v_addc_co_u32_e32 v1, vcc, v3, v1, vcc
	ds_write_b64 v0, v[0:1]
	ds_write_b64 v0, v[10:11]
.LBB4_52:                               ;   in Loop: Header=BB4_49 Depth=1
	s_or_b64 exec, exec, s[20:21]
	v_and_b32_e32 v0, 12, v62
	v_min_u32_e32 v31, v31, v14
	v_cmp_ne_u32_e32 vcc, 0, v0
	s_and_saveexec_b64 s[22:23], vcc
	s_cbranch_execz .LBB4_78
; %bb.53:                               ;   in Loop: Header=BB4_49 Depth=1
	v_and_b32_e32 v0, 8, v62
	v_add_co_u32_e32 v1, vcc, v36, v0
	v_mov_b32_e32 v18, v9
	v_addc_co_u32_e32 v2, vcc, 0, v37, vcc
	v_mov_b32_e32 v17, v8
	v_mov_b32_e32 v15, v6
	v_mov_b32_e32 v16, v7
	v_add_co_u32_e32 v15, vcc, 1, v17
	v_addc_co_u32_e32 v16, vcc, 0, v18, vcc
	v_cmp_lt_u64_e32 vcc, v[1:2], v[15:16]
	s_and_saveexec_b64 s[60:61], vcc
	s_cbranch_execz .LBB4_65
; %bb.54:                               ;   in Loop: Header=BB4_49 Depth=1
	v_and_b32_e32 v1, 64, v62
	s_mov_b32 s51, 0
	v_cmp_eq_u32_e32 vcc, 0, v1
	s_mov_b64 s[62:63], 0
                                        ; implicit-def: $sgpr72_sgpr73
                                        ; implicit-def: $sgpr74_sgpr75
                                        ; implicit-def: $sgpr76_sgpr77
	s_branch .LBB4_58
.LBB4_55:                               ;   in Loop: Header=BB4_58 Depth=2
	s_waitcnt vmcnt(0) lgkmcnt(0)
	v_add_co_u32_e64 v2, s[20:21], v36, v0
	v_addc_co_u32_e64 v3, s[20:21], 0, v37, s[20:21]
	v_cmp_ge_u64_e64 s[20:21], v[2:3], v[15:16]
	s_or_b64 s[90:91], s[90:91], exec
	s_orn2_b64 s[88:89], s[20:21], exec
.LBB4_56:                               ;   in Loop: Header=BB4_58 Depth=2
	s_or_b64 exec, exec, s[94:95]
	s_andn2_b64 s[20:21], s[76:77], exec
	s_and_b64 s[76:77], s[90:91], exec
	s_or_b64 s[76:77], s[20:21], s[76:77]
	s_andn2_b64 s[20:21], s[74:75], exec
	s_and_b64 s[74:75], s[88:89], exec
	s_or_b64 s[74:75], s[20:21], s[74:75]
.LBB4_57:                               ;   in Loop: Header=BB4_58 Depth=2
	s_or_b64 exec, exec, s[78:79]
	s_and_b64 s[20:21], exec, s[74:75]
	s_or_b64 s[62:63], s[20:21], s[62:63]
	s_andn2_b64 s[20:21], s[72:73], exec
	s_and_b64 s[72:73], s[76:77], exec
	s_or_b64 s[72:73], s[20:21], s[72:73]
	s_andn2_b64 exec, exec, s[62:63]
	s_cbranch_execz .LBB4_62
.LBB4_58:                               ;   Parent Loop BB4_49 Depth=1
                                        ; =>  This Inner Loop Header: Depth=2
	s_sleep 1
	s_waitcnt vmcnt(0) lgkmcnt(0)
	flat_load_dwordx2 v[36:37], v[32:33] glc
	s_or_b64 s[76:77], s[76:77], exec
	s_or_b64 s[74:75], s[74:75], exec
                                        ; implicit-def: $vgpr1
	s_and_saveexec_b64 s[78:79], vcc
	s_cbranch_execz .LBB4_57
; %bb.59:                               ;   in Loop: Header=BB4_58 Depth=2
	s_cmpk_lt_i32 s51, 0x270f
	s_cselect_b64 s[92:93], -1, 0
	s_cmpk_gt_i32 s51, 0x270e
	s_mov_b64 s[88:89], -1
	s_cbranch_scc0 .LBB4_61
; %bb.60:                               ;   in Loop: Header=BB4_58 Depth=2
	s_trap 2
	ds_read_b64 v[1:2], v0
	s_andn2_b64 s[92:93], s[92:93], exec
	s_mov_b32 s51, 0
	s_mov_b64 s[90:91], 0
	s_waitcnt vmcnt(0) lgkmcnt(0)
	flat_load_dword v1, v[1:2] glc
	s_waitcnt vmcnt(0) lgkmcnt(0)
	buffer_wbinvl1_vol
	v_cmp_eq_u32_e64 s[20:21], 0, v1
	s_and_b64 s[20:21], s[20:21], exec
	s_or_b64 s[92:93], s[92:93], s[20:21]
	s_and_saveexec_b64 s[94:95], s[92:93]
	s_cbranch_execz .LBB4_56
	s_branch .LBB4_55
.LBB4_61:                               ;   in Loop: Header=BB4_58 Depth=2
	s_add_i32 s51, s51, 1
	s_mov_b64 s[90:91], -1
                                        ; implicit-def: $vgpr1
	s_and_saveexec_b64 s[94:95], s[92:93]
	s_cbranch_execz .LBB4_56
	s_branch .LBB4_55
.LBB4_62:                               ;   in Loop: Header=BB4_49 Depth=1
	s_or_b64 exec, exec, s[62:63]
	s_xor_b64 s[20:21], s[72:73], -1
	s_and_saveexec_b64 s[62:63], s[20:21]
	s_xor_b64 s[20:21], exec, s[62:63]
	s_cbranch_execz .LBB4_64
; %bb.63:                               ;   in Loop: Header=BB4_49 Depth=1
	v_or_b32_e32 v62, 64, v62
	s_waitcnt lgkmcnt(0)
	ds_write_b32 v0, v1
	s_trap 2
.LBB4_64:                               ;   in Loop: Header=BB4_49 Depth=1
	s_or_b64 exec, exec, s[20:21]
.LBB4_65:                               ;   in Loop: Header=BB4_49 Depth=1
	s_or_b64 exec, exec, s[60:61]
	v_and_b32_e32 v1, 0x108, v62
	v_cmp_ne_u32_e32 vcc, s39, v1
	;;#ASMSTART
	s_wakeup
	;;#ASMEND
                                        ; implicit-def: $vgpr17_vgpr18
	s_and_saveexec_b64 s[20:21], vcc
	s_xor_b64 s[20:21], exec, s[20:21]
; %bb.66:                               ;   in Loop: Header=BB4_49 Depth=1
	v_and_b32_e32 v17, 7, v8
	v_mov_b32_e32 v18, v10
; %bb.67:                               ;   in Loop: Header=BB4_49 Depth=1
	s_andn2_saveexec_b64 s[20:21], s[20:21]
	s_cbranch_execz .LBB4_69
; %bb.68:                               ;   in Loop: Header=BB4_49 Depth=1
	v_mov_b32_e32 v1, v6
	v_mov_b32_e32 v3, v8
	;; [unrolled: 1-line block ×3, first 2 shown]
	v_and_b32_e32 v17, 7, v3
	v_mad_u64_u32 v[1:2], s[60:61], v17, 24, v[1:2]
	v_mov_b32_e32 v18, v10
	v_lshlrev_b32_e32 v8, 1, v31
	v_mov_b32_e32 v9, v10
	flat_store_dwordx2 v[1:2], v[8:9] offset:8
.LBB4_69:                               ;   in Loop: Header=BB4_49 Depth=1
	s_or_b64 exec, exec, s[20:21]
	v_and_b32_e32 v1, 0x100, v62
	v_cmp_ne_u32_e32 vcc, 0, v1
	s_mov_b64 s[20:21], -1
                                        ; implicit-def: $vgpr2_vgpr3
	s_and_saveexec_b64 s[60:61], vcc
	s_cbranch_execz .LBB4_73
; %bb.70:                               ;   in Loop: Header=BB4_49 Depth=1
	v_mad_u64_u32 v[8:9], s[20:21], v17, 24, v[6:7]
	v_mov_b32_e32 v1, v9
	v_mad_u64_u32 v[1:2], s[20:21], v18, 24, v[1:2]
                                        ; implicit-def: $vgpr2_vgpr3
	v_mov_b32_e32 v9, v1
	flat_load_dword v1, v[8:9]
	s_waitcnt vmcnt(0) lgkmcnt(0)
	v_cmp_ne_u32_e32 vcc, 1, v1
	v_cmp_eq_u32_e64 s[20:21], 1, v1
	s_and_saveexec_b64 s[62:63], s[20:21]
	s_cbranch_execz .LBB4_72
; %bb.71:                               ;   in Loop: Header=BB4_49 Depth=1
	flat_load_dword v1, v[8:9] offset:4 glc
	s_waitcnt vmcnt(0) lgkmcnt(0)
	v_ashrrev_i32_e32 v2, 31, v1
	v_lshrrev_b64 v[2:3], 1, v[1:2]
.LBB4_72:                               ;   in Loop: Header=BB4_49 Depth=1
	s_or_b64 exec, exec, s[62:63]
	s_orn2_b64 s[20:21], vcc, exec
.LBB4_73:                               ;   in Loop: Header=BB4_49 Depth=1
	s_or_b64 exec, exec, s[60:61]
	s_and_saveexec_b64 s[60:61], s[20:21]
	s_cbranch_execz .LBB4_75
; %bb.74:                               ;   in Loop: Header=BB4_49 Depth=1
	buffer_load_dword v2, off, s[0:3], s33 offset:168 ; 4-byte Folded Reload
	buffer_load_dword v3, off, s[0:3], s33 offset:184 ; 4-byte Folded Reload
	s_waitcnt vmcnt(0)
	v_mul_lo_u32 v1, v18, v2
	v_mul_lo_u32 v8, v17, v3
	v_mad_u64_u32 v[2:3], s[20:21], v17, v2, 0
	v_add3_u32 v3, v3, v8, v1
.LBB4_75:                               ;   in Loop: Header=BB4_49 Depth=1
	s_or_b64 exec, exec, s[60:61]
	v_cmp_eq_u32_e32 vcc, 0, v0
	v_lshlrev_b64 v[0:1], 1, v[2:3]
	buffer_load_dword v2, off, s[0:3], s33 offset:128 ; 4-byte Folded Reload
	buffer_load_dword v3, off, s[0:3], s33 offset:132 ; 4-byte Folded Reload
	v_cndmask_b32_e32 v8, v21, v22, vcc
	s_waitcnt vmcnt(0)
	v_add_co_u32_e32 v0, vcc, v2, v0
	v_addc_co_u32_e32 v1, vcc, v3, v1, vcc
	v_add_u32_e32 v2, v0, v8
	ds_write_b64 v2, v[0:1] offset:584
	v_and_b32_e32 v0, 0x2000, v62
	v_cmp_ne_u32_e32 vcc, 0, v0
	s_and_saveexec_b64 s[20:21], vcc
	s_cbranch_execz .LBB4_77
; %bb.76:                               ;   in Loop: Header=BB4_49 Depth=1
	ds_read_b64 v[0:1], v0 offset:872
	s_waitcnt lgkmcnt(0)
	v_add_co_u32_e32 v0, vcc, 1, v0
	v_addc_co_u32_e32 v1, vcc, 0, v1, vcc
	ds_write_b64 v0, v[0:1] offset:872
.LBB4_77:                               ;   in Loop: Header=BB4_49 Depth=1
	s_or_b64 exec, exec, s[20:21]
	v_mov_b32_e32 v8, v15
	v_mov_b32_e32 v9, v16
.LBB4_78:                               ;   in Loop: Header=BB4_49 Depth=1
	s_or_b64 exec, exec, s[22:23]
	s_and_saveexec_b64 s[20:21], s[10:11]
	s_cbranch_execz .LBB4_97
; %bb.79:                               ;   in Loop: Header=BB4_49 Depth=1
	s_and_saveexec_b64 s[22:23], s[42:43]
	s_xor_b64 s[22:23], exec, s[22:23]
	s_cbranch_execz .LBB4_94
; %bb.80:                               ;   in Loop: Header=BB4_49 Depth=1
	s_and_saveexec_b64 s[60:61], s[12:13]
	s_cbranch_execz .LBB4_93
; %bb.81:                               ;   in Loop: Header=BB4_49 Depth=1
	s_mov_b64 s[72:73], exec
	v_mbcnt_lo_u32_b32 v0, s72, 0
	v_mbcnt_hi_u32_b32 v0, s73, v0
	v_cmp_eq_u32_e32 vcc, 0, v0
	s_waitcnt vmcnt(0) lgkmcnt(0)
	buffer_wbinvl1_vol
	s_and_saveexec_b64 s[62:63], vcc
	s_cbranch_execz .LBB4_83
; %bb.82:                               ;   in Loop: Header=BB4_49 Depth=1
	s_bcnt1_i32_b64 s72, s[72:73]
	v_mov_b32_e32 v0, s72
	v_mov_b32_e32 v1, v10
	ds_add_u64 v0, v[0:1]
	s_trap 2
.LBB4_83:                               ;   in Loop: Header=BB4_49 Depth=1
	s_or_b64 exec, exec, s[62:63]
	s_trap 2
	ds_read_b64 v[0:1], v0
	s_waitcnt lgkmcnt(0)
	v_add_co_u32_e32 v38, vcc, v38, v28
	v_addc_co_u32_e32 v39, vcc, 0, v39, vcc
	v_cmp_lt_u64_e32 vcc, v[0:1], v[38:39]
	s_and_saveexec_b64 s[62:63], vcc
	s_cbranch_execz .LBB4_92
; %bb.84:                               ;   in Loop: Header=BB4_49 Depth=1
	s_mov_b32 s92, 0
	s_mov_b64 s[72:73], 0
                                        ; implicit-def: $sgpr74_sgpr75
                                        ; implicit-def: $sgpr76_sgpr77
	s_branch .LBB4_86
.LBB4_85:                               ;   in Loop: Header=BB4_86 Depth=2
	s_or_b64 exec, exec, s[88:89]
	s_and_b64 s[78:79], exec, s[90:91]
	s_or_b64 s[72:73], s[78:79], s[72:73]
	s_andn2_b64 s[74:75], s[74:75], exec
	s_and_b64 s[78:79], s[76:77], exec
	s_or_b64 s[74:75], s[74:75], s[78:79]
	s_andn2_b64 exec, exec, s[72:73]
	s_cbranch_execz .LBB4_90
.LBB4_86:                               ;   Parent Loop BB4_49 Depth=1
                                        ; =>  This Inner Loop Header: Depth=2
	s_add_i32 s92, s92, 1
	s_cmpk_lg_i32 s92, 0x2710
	s_cselect_b64 s[78:79], -1, 0
	s_and_b64 vcc, exec, s[78:79]
	s_cbranch_vccz .LBB4_88
; %bb.87:                               ;   in Loop: Header=BB4_86 Depth=2
	s_mov_b64 s[90:91], -1
	s_or_b64 s[76:77], s[76:77], exec
	s_and_saveexec_b64 s[88:89], s[78:79]
	s_cbranch_execz .LBB4_85
	s_branch .LBB4_89
.LBB4_88:                               ;   in Loop: Header=BB4_86 Depth=2
	s_trap 2
	ds_read_b64 v[0:1], v0
	s_andn2_b64 s[78:79], s[78:79], exec
	s_mov_b32 s92, 0
	s_waitcnt lgkmcnt(0)
	flat_load_dword v0, v[0:1] glc
	s_waitcnt vmcnt(0) lgkmcnt(0)
	buffer_wbinvl1_vol
	v_cmp_eq_u32_e32 vcc, 0, v0
	s_and_b64 s[88:89], vcc, exec
	s_or_b64 s[78:79], s[78:79], s[88:89]
	s_mov_b64 s[90:91], -1
	s_or_b64 s[76:77], s[76:77], exec
	s_and_saveexec_b64 s[88:89], s[78:79]
	s_cbranch_execz .LBB4_85
.LBB4_89:                               ;   in Loop: Header=BB4_86 Depth=2
	s_sleep 1
	s_trap 2
	ds_read_b64 v[0:1], v0
	s_waitcnt lgkmcnt(0)
	s_andn2_b64 s[76:77], s[76:77], exec
	v_cmp_ge_u64_e32 vcc, v[0:1], v[38:39]
	s_orn2_b64 s[90:91], vcc, exec
	s_branch .LBB4_85
.LBB4_90:                               ;   in Loop: Header=BB4_49 Depth=1
	s_or_b64 exec, exec, s[72:73]
	s_and_saveexec_b64 s[72:73], s[74:75]
	s_xor_b64 s[72:73], exec, s[72:73]
	s_cbranch_execz .LBB4_92
; %bb.91:                               ;   in Loop: Header=BB4_49 Depth=1
	ds_write_b32 v0, v20
	s_trap 2
.LBB4_92:                               ;   in Loop: Header=BB4_49 Depth=1
	s_or_b64 exec, exec, s[62:63]
	;;#ASMSTART
	s_wakeup
	;;#ASMEND
.LBB4_93:                               ;   in Loop: Header=BB4_49 Depth=1
	s_or_b64 exec, exec, s[60:61]
.LBB4_94:                               ;   in Loop: Header=BB4_49 Depth=1
	s_andn2_saveexec_b64 s[22:23], s[22:23]
	s_cbranch_execz .LBB4_96
; %bb.95:                               ;   in Loop: Header=BB4_49 Depth=1
	s_waitcnt vmcnt(0) lgkmcnt(0)
	buffer_wbinvl1_vol
	s_barrier
.LBB4_96:                               ;   in Loop: Header=BB4_49 Depth=1
	s_or_b64 exec, exec, s[22:23]
.LBB4_97:                               ;   in Loop: Header=BB4_49 Depth=1
	s_or_b64 exec, exec, s[20:21]
	s_trap 2
	ds_read_b32 v0, v0
	v_and_b32_e32 v1, 0x4000, v62
	v_cmp_ne_u32_e32 vcc, 0, v1
	s_and_b64 s[22:23], s[46:47], vcc
	s_and_saveexec_b64 s[20:21], s[22:23]
	s_cbranch_execz .LBB4_116
; %bb.98:                               ;   in Loop: Header=BB4_49 Depth=1
	s_and_saveexec_b64 s[22:23], s[42:43]
	s_xor_b64 s[22:23], exec, s[22:23]
	s_cbranch_execz .LBB4_113
; %bb.99:                               ;   in Loop: Header=BB4_49 Depth=1
	s_and_saveexec_b64 s[60:61], s[12:13]
	s_cbranch_execz .LBB4_112
; %bb.100:                              ;   in Loop: Header=BB4_49 Depth=1
	s_mov_b64 s[72:73], exec
	v_mbcnt_lo_u32_b32 v1, s72, 0
	v_mbcnt_hi_u32_b32 v1, s73, v1
	v_cmp_eq_u32_e32 vcc, 0, v1
	s_waitcnt vmcnt(0) lgkmcnt(0)
	buffer_wbinvl1_vol
	s_and_saveexec_b64 s[62:63], vcc
	s_cbranch_execz .LBB4_102
; %bb.101:                              ;   in Loop: Header=BB4_49 Depth=1
	s_bcnt1_i32_b64 s72, s[72:73]
	v_mov_b32_e32 v1, s72
	v_mov_b32_e32 v2, v10
	ds_add_u64 v0, v[1:2]
	s_trap 2
.LBB4_102:                              ;   in Loop: Header=BB4_49 Depth=1
	s_or_b64 exec, exec, s[62:63]
	s_trap 2
	ds_read_b64 v[1:2], v0
	s_waitcnt lgkmcnt(0)
	v_add_co_u32_e32 v38, vcc, v38, v28
	v_addc_co_u32_e32 v39, vcc, 0, v39, vcc
	v_cmp_lt_u64_e32 vcc, v[1:2], v[38:39]
	s_and_saveexec_b64 s[62:63], vcc
	s_cbranch_execz .LBB4_111
; %bb.103:                              ;   in Loop: Header=BB4_49 Depth=1
	s_mov_b32 s92, 0
	s_mov_b64 s[72:73], 0
                                        ; implicit-def: $sgpr74_sgpr75
                                        ; implicit-def: $sgpr76_sgpr77
	s_branch .LBB4_105
.LBB4_104:                              ;   in Loop: Header=BB4_105 Depth=2
	s_or_b64 exec, exec, s[88:89]
	s_and_b64 s[78:79], exec, s[90:91]
	s_or_b64 s[72:73], s[78:79], s[72:73]
	s_andn2_b64 s[74:75], s[74:75], exec
	s_and_b64 s[78:79], s[76:77], exec
	s_or_b64 s[74:75], s[74:75], s[78:79]
	s_andn2_b64 exec, exec, s[72:73]
	s_cbranch_execz .LBB4_109
.LBB4_105:                              ;   Parent Loop BB4_49 Depth=1
                                        ; =>  This Inner Loop Header: Depth=2
	s_add_i32 s92, s92, 1
	s_cmpk_lg_i32 s92, 0x2710
	s_cselect_b64 s[78:79], -1, 0
	s_and_b64 vcc, exec, s[78:79]
	s_cbranch_vccz .LBB4_107
; %bb.106:                              ;   in Loop: Header=BB4_105 Depth=2
	s_mov_b64 s[90:91], -1
	s_or_b64 s[76:77], s[76:77], exec
	s_and_saveexec_b64 s[88:89], s[78:79]
	s_cbranch_execz .LBB4_104
	s_branch .LBB4_108
.LBB4_107:                              ;   in Loop: Header=BB4_105 Depth=2
	s_trap 2
	ds_read_b64 v[1:2], v0
	s_andn2_b64 s[78:79], s[78:79], exec
	s_mov_b32 s92, 0
	s_waitcnt lgkmcnt(0)
	flat_load_dword v1, v[1:2] glc
	s_waitcnt vmcnt(0) lgkmcnt(0)
	buffer_wbinvl1_vol
	v_cmp_eq_u32_e32 vcc, 0, v1
	s_and_b64 s[88:89], vcc, exec
	s_or_b64 s[78:79], s[78:79], s[88:89]
	s_mov_b64 s[90:91], -1
	s_or_b64 s[76:77], s[76:77], exec
	s_and_saveexec_b64 s[88:89], s[78:79]
	s_cbranch_execz .LBB4_104
.LBB4_108:                              ;   in Loop: Header=BB4_105 Depth=2
	s_sleep 1
	s_trap 2
	ds_read_b64 v[1:2], v0
	s_waitcnt lgkmcnt(0)
	s_andn2_b64 s[76:77], s[76:77], exec
	v_cmp_ge_u64_e32 vcc, v[1:2], v[38:39]
	s_orn2_b64 s[90:91], vcc, exec
	s_branch .LBB4_104
.LBB4_109:                              ;   in Loop: Header=BB4_49 Depth=1
	s_or_b64 exec, exec, s[72:73]
	s_and_saveexec_b64 s[72:73], s[74:75]
	s_xor_b64 s[72:73], exec, s[72:73]
	s_cbranch_execz .LBB4_111
; %bb.110:                              ;   in Loop: Header=BB4_49 Depth=1
	ds_write_b32 v0, v20
	s_trap 2
.LBB4_111:                              ;   in Loop: Header=BB4_49 Depth=1
	s_or_b64 exec, exec, s[62:63]
	;;#ASMSTART
	s_wakeup
	;;#ASMEND
.LBB4_112:                              ;   in Loop: Header=BB4_49 Depth=1
	s_or_b64 exec, exec, s[60:61]
.LBB4_113:                              ;   in Loop: Header=BB4_49 Depth=1
	s_andn2_saveexec_b64 s[22:23], s[22:23]
	s_cbranch_execz .LBB4_115
; %bb.114:                              ;   in Loop: Header=BB4_49 Depth=1
	s_waitcnt vmcnt(0) lgkmcnt(0)
	buffer_wbinvl1_vol
	s_barrier
.LBB4_115:                              ;   in Loop: Header=BB4_49 Depth=1
	s_or_b64 exec, exec, s[22:23]
.LBB4_116:                              ;   in Loop: Header=BB4_49 Depth=1
	s_or_b64 exec, exec, s[20:21]
	s_trap 2
	s_waitcnt lgkmcnt(0)
	ds_read_b64 v[15:16], v0
	s_waitcnt lgkmcnt(0)
	v_cmp_eq_u64_e32 vcc, 0, v[15:16]
	s_cbranch_vccnz .LBB4_124
; %bb.117:                              ;   in Loop: Header=BB4_49 Depth=1
	s_trap 2
	ds_read_b64 v[17:18], v0
	s_waitcnt lgkmcnt(0)
	v_cmp_eq_u64_e32 vcc, 0, v[17:18]
	s_cbranch_vccnz .LBB4_124
; %bb.118:                              ;   in Loop: Header=BB4_49 Depth=1
	s_mov_b64 s[22:23], -1
	s_and_saveexec_b64 s[20:21], s[14:15]
	s_cbranch_execz .LBB4_120
; %bb.119:                              ;   in Loop: Header=BB4_49 Depth=1
	ds_read_b32 v1, v0 offset:720
	s_waitcnt lgkmcnt(0)
	v_and_b32_e32 v1, 15, v1
	v_cmp_eq_u32_e32 vcc, 0, v1
	s_orn2_b64 s[22:23], vcc, exec
.LBB4_120:                              ;   in Loop: Header=BB4_49 Depth=1
	s_or_b64 exec, exec, s[20:21]
	s_and_saveexec_b64 s[20:21], s[16:17]
	s_cbranch_execz .LBB4_122
; %bb.121:                              ;   in Loop: Header=BB4_49 Depth=1
	ds_read_b32 v1, v0 offset:784
	s_waitcnt lgkmcnt(0)
	v_and_b32_e32 v1, 15, v1
	v_cmp_eq_u32_e32 vcc, 0, v1
	s_and_b64 s[60:61], s[22:23], vcc
	s_andn2_b64 s[22:23], s[22:23], exec
	s_and_b64 s[60:61], s[60:61], exec
	s_or_b64 s[22:23], s[22:23], s[60:61]
.LBB4_122:                              ;   in Loop: Header=BB4_49 Depth=1
	s_or_b64 exec, exec, s[20:21]
	s_xor_b64 s[22:23], s[22:23], -1
	v_cmp_eq_u32_e64 s[20:21], 0, v0
	v_cndmask_b32_e64 v0, 0, 1, s[22:23]
	s_mov_b64 s[62:63], -1
	v_cmp_ne_u32_e32 vcc, 0, v0
	s_cbranch_vccz .LBB4_125
; %bb.123:                              ;   in Loop: Header=BB4_49 Depth=1
	s_mov_b64 s[62:63], 0
	s_mov_b64 s[60:61], -1
	s_branch .LBB4_126
.LBB4_124:                              ;   in Loop: Header=BB4_49 Depth=1
	s_mov_b64 s[20:21], 0
	s_and_saveexec_b64 s[22:23], s[10:11]
	s_cbranch_execnz .LBB4_439
	s_branch .LBB4_457
.LBB4_125:                              ;   in Loop: Header=BB4_49 Depth=1
	s_mov_b64 s[60:61], 0
.LBB4_126:                              ;   in Loop: Header=BB4_49 Depth=1
	v_cndmask_b32_e64 v0, 0, v31, s[20:21]
	v_lshlrev_b32_e32 v1, 1, v0
	s_andn2_b64 vcc, exec, s[62:63]
	v_mov_b32_e32 v30, 0
	buffer_store_dword v0, off, s[0:3], s33 offset:180 ; 4-byte Folded Spill
	s_cbranch_vccnz .LBB4_203
; %bb.127:                              ;   in Loop: Header=BB4_49 Depth=1
	buffer_load_dword v21, off, s[0:3], s33 offset:208 ; 4-byte Folded Reload
	s_trap 2
	buffer_load_dword v2, off, s[0:3], s33 offset:228 ; 4-byte Folded Reload
	v_lshrrev_b32_e32 v0, 9, v0
	v_lshlrev_b32_e32 v11, 10, v0
	v_sub_u32_e32 v23, v1, v11
	v_cmp_lt_i32_e64 s[20:21], 15, v23
	ds_read_b64 v[19:20], v0
	s_mov_b64 s[72:73], 0
	s_waitcnt vmcnt(0)
	v_sub_u32_e32 v3, v1, v21
	s_waitcnt vmcnt(0)
	v_addc_co_u32_e64 v24, vcc, v0, v2, s[20:21]
	buffer_load_dword v0, off, s[0:3], s33 offset:212 ; 4-byte Folded Reload
	v_add_co_u32_e32 v21, vcc, v17, v21
	s_waitcnt vmcnt(0)
	v_addc_co_u32_e32 v22, vcc, v18, v0, vcc
	v_cmp_lt_i32_e32 vcc, 15, v3
	s_and_saveexec_b64 s[62:63], vcc
	s_cbranch_execz .LBB4_205
; %bb.128:                              ;   in Loop: Header=BB4_49 Depth=1
	buffer_load_dword v0, off, s[0:3], s33 offset:208 ; 4-byte Folded Reload
	buffer_load_dword v2, off, s[0:3], s33 offset:212 ; 4-byte Folded Reload
	s_mov_b64 s[76:77], 0
                                        ; implicit-def: $sgpr74_sgpr75
	s_waitcnt vmcnt(1)
	v_add_co_u32_e32 v26, vcc, v15, v0
	s_waitcnt vmcnt(0)
	v_addc_co_u32_e32 v27, vcc, v16, v2, vcc
	s_waitcnt lgkmcnt(0)
	v_add_co_u32_e32 v30, vcc, v19, v0
	v_addc_co_u32_e32 v34, vcc, v20, v2, vcc
	s_branch .LBB4_130
.LBB4_129:                              ;   in Loop: Header=BB4_130 Depth=2
	s_or_b64 exec, exec, s[22:23]
	v_cmp_gt_i32_e32 vcc, 16, v3
	s_or_b64 s[72:73], vcc, s[72:73]
	s_andn2_b64 s[22:23], s[74:75], exec
	s_and_b64 s[74:75], s[76:77], exec
	s_or_b64 s[74:75], s[22:23], s[74:75]
	s_andn2_b64 exec, exec, s[72:73]
	s_cbranch_execz .LBB4_204
.LBB4_130:                              ;   Parent Loop BB4_49 Depth=1
                                        ; =>  This Loop Header: Depth=2
                                        ;       Child Loop BB4_131 Depth 3
                                        ;       Child Loop BB4_168 Depth 3
	s_lshr_b32 s90, s33, 6
	s_add_i32 s90, s90, 64
	s_mov_b64 s[78:79], -1
	s_mov_b64 s[88:89], 0
.LBB4_131:                              ;   Parent Loop BB4_49 Depth=1
                                        ;     Parent Loop BB4_130 Depth=2
                                        ; =>    This Inner Loop Header: Depth=3
	s_cmp_eq_u32 s88, 1
	s_cselect_b64 s[22:23], -1, 0
	v_cndmask_b32_e64 v42, v27, v34, s[22:23]
	v_cndmask_b32_e64 v41, v26, v30, s[22:23]
	global_load_dwordx4 v[50:53], v[41:42], off glc slc
	v_mov_b32_e32 v0, s90
	s_cmp_eq_u32 s88, 0
	s_mov_b64 s[88:89], 1
	s_mov_b32 s90, s35
	s_waitcnt vmcnt(0)
	buffer_store_dword v51, v0, s[0:3], 0 offen offset:4
	buffer_store_dword v50, v0, s[0:3], 0 offen
	buffer_store_dword v53, v0, s[0:3], 0 offen offset:12
	buffer_store_dword v52, v0, s[0:3], 0 offen offset:8
	v_add_co_u32_e32 v0, vcc, s36, v41
	v_addc_co_u32_e32 v2, vcc, 0, v42, vcc
	s_cselect_b64 vcc, -1, 0
	v_cndmask_b32_e32 v27, v27, v2, vcc
	v_cndmask_b32_e32 v26, v26, v0, vcc
	v_cndmask_b32_e64 v34, v34, v2, s[22:23]
	v_cndmask_b32_e64 v30, v30, v0, s[22:23]
	s_and_b64 vcc, exec, s[78:79]
	s_mov_b64 s[78:79], 0
	s_cbranch_vccnz .LBB4_131
; %bb.132:                              ;   in Loop: Header=BB4_130 Depth=2
	s_and_saveexec_b64 s[22:23], s[76:77]
	s_cbranch_execz .LBB4_166
; %bb.133:                              ;   in Loop: Header=BB4_130 Depth=2
	buffer_load_dword v29, off, s[0:3], s33 offset:96
	buffer_load_dword v52, off, s[0:3], s33 offset:100
	;; [unrolled: 1-line block ×8, first 2 shown]
	s_waitcnt vmcnt(7)
	v_lshlrev_b32_e32 v0, 16, v29
	s_waitcnt vmcnt(4)
	v_lshlrev_b32_e32 v41, 16, v35
	v_add_f32_e32 v41, v0, v41
	v_and_b32_e32 v0, 0x7f800000, v41
	v_cmp_ne_u32_e32 vcc, s48, v0
                                        ; implicit-def: $vgpr0
	s_and_saveexec_b64 s[76:77], vcc
	s_xor_b64 s[76:77], exec, s[76:77]
; %bb.134:                              ;   in Loop: Header=BB4_130 Depth=2
	v_bfe_u32 v0, v41, 16, 1
	v_add3_u32 v0, v41, v0, s49
                                        ; implicit-def: $vgpr41
; %bb.135:                              ;   in Loop: Header=BB4_130 Depth=2
	s_andn2_saveexec_b64 s[76:77], s[76:77]
; %bb.136:                              ;   in Loop: Header=BB4_130 Depth=2
	v_or_b32_e32 v0, 0x10000, v41
	v_cmp_eq_u32_sdwa vcc, v41, v10 src0_sel:WORD_0 src1_sel:DWORD
	v_cndmask_b32_e32 v0, v0, v41, vcc
; %bb.137:                              ;   in Loop: Header=BB4_130 Depth=2
	s_or_b64 exec, exec, s[76:77]
	v_and_b32_e32 v29, 0xffff0000, v29
	v_and_b32_e32 v35, 0xffff0000, v35
	v_add_f32_e32 v35, v29, v35
	v_and_b32_e32 v29, 0x7f800000, v35
	v_cmp_ne_u32_e32 vcc, s48, v29
                                        ; implicit-def: $vgpr29
	s_and_saveexec_b64 s[76:77], vcc
	s_xor_b64 s[76:77], exec, s[76:77]
; %bb.138:                              ;   in Loop: Header=BB4_130 Depth=2
	v_bfe_u32 v29, v35, 16, 1
	v_add3_u32 v29, v35, v29, s49
                                        ; implicit-def: $vgpr35
; %bb.139:                              ;   in Loop: Header=BB4_130 Depth=2
	s_andn2_saveexec_b64 s[76:77], s[76:77]
; %bb.140:                              ;   in Loop: Header=BB4_130 Depth=2
	v_or_b32_e32 v29, 0x10000, v35
	v_cmp_eq_u32_sdwa vcc, v35, v10 src0_sel:WORD_0 src1_sel:DWORD
	v_cndmask_b32_e32 v29, v29, v35, vcc
; %bb.141:                              ;   in Loop: Header=BB4_130 Depth=2
	s_or_b64 exec, exec, s[76:77]
	v_lshlrev_b32_e32 v35, 16, v52
	s_waitcnt vmcnt(3)
	v_lshlrev_b32_e32 v41, 16, v53
	v_add_f32_e32 v41, v35, v41
	v_and_b32_e32 v35, 0x7f800000, v41
	v_cmp_ne_u32_e32 vcc, s48, v35
                                        ; implicit-def: $vgpr35
	s_and_saveexec_b64 s[76:77], vcc
	s_xor_b64 s[76:77], exec, s[76:77]
; %bb.142:                              ;   in Loop: Header=BB4_130 Depth=2
	v_bfe_u32 v35, v41, 16, 1
	v_add3_u32 v35, v41, v35, s49
                                        ; implicit-def: $vgpr41
; %bb.143:                              ;   in Loop: Header=BB4_130 Depth=2
	s_andn2_saveexec_b64 s[76:77], s[76:77]
; %bb.144:                              ;   in Loop: Header=BB4_130 Depth=2
	v_or_b32_e32 v35, 0x10000, v41
	v_cmp_eq_u32_sdwa vcc, v41, v10 src0_sel:WORD_0 src1_sel:DWORD
	v_cndmask_b32_e32 v35, v35, v41, vcc
; %bb.145:                              ;   in Loop: Header=BB4_130 Depth=2
	s_or_b64 exec, exec, s[76:77]
	v_and_b32_e32 v52, 0xffff0000, v52
	v_and_b32_e32 v53, 0xffff0000, v53
	v_add_f32_e32 v53, v52, v53
	v_and_b32_e32 v52, 0x7f800000, v53
	v_cmp_ne_u32_e32 vcc, s48, v52
                                        ; implicit-def: $vgpr52
	s_and_saveexec_b64 s[76:77], vcc
	s_xor_b64 s[76:77], exec, s[76:77]
; %bb.146:                              ;   in Loop: Header=BB4_130 Depth=2
	v_bfe_u32 v52, v53, 16, 1
	v_add3_u32 v52, v53, v52, s49
                                        ; implicit-def: $vgpr53
; %bb.147:                              ;   in Loop: Header=BB4_130 Depth=2
	s_andn2_saveexec_b64 s[76:77], s[76:77]
; %bb.148:                              ;   in Loop: Header=BB4_130 Depth=2
	v_or_b32_e32 v52, 0x10000, v53
	v_cmp_eq_u32_sdwa vcc, v53, v10 src0_sel:WORD_0 src1_sel:DWORD
	v_cndmask_b32_e32 v52, v52, v53, vcc
; %bb.149:                              ;   in Loop: Header=BB4_130 Depth=2
	s_or_b64 exec, exec, s[76:77]
	v_lshlrev_b32_e32 v53, 16, v50
	s_waitcnt vmcnt(2)
	v_lshlrev_b32_e32 v41, 16, v51
	v_add_f32_e32 v41, v53, v41
	v_and_b32_e32 v53, 0x7f800000, v41
	v_cmp_ne_u32_e32 vcc, s48, v53
                                        ; implicit-def: $vgpr53
	s_and_saveexec_b64 s[76:77], vcc
	s_xor_b64 s[76:77], exec, s[76:77]
; %bb.150:                              ;   in Loop: Header=BB4_130 Depth=2
	v_bfe_u32 v53, v41, 16, 1
	v_add3_u32 v53, v41, v53, s49
                                        ; implicit-def: $vgpr41
; %bb.151:                              ;   in Loop: Header=BB4_130 Depth=2
	s_andn2_saveexec_b64 s[76:77], s[76:77]
; %bb.152:                              ;   in Loop: Header=BB4_130 Depth=2
	v_or_b32_e32 v53, 0x10000, v41
	v_cmp_eq_u32_sdwa vcc, v41, v10 src0_sel:WORD_0 src1_sel:DWORD
	v_cndmask_b32_e32 v53, v53, v41, vcc
; %bb.153:                              ;   in Loop: Header=BB4_130 Depth=2
	s_or_b64 exec, exec, s[76:77]
	v_and_b32_e32 v50, 0xffff0000, v50
	v_and_b32_e32 v51, 0xffff0000, v51
	v_add_f32_e32 v51, v50, v51
	v_and_b32_e32 v50, 0x7f800000, v51
	v_cmp_ne_u32_e32 vcc, s48, v50
                                        ; implicit-def: $vgpr50
	s_and_saveexec_b64 s[76:77], vcc
	s_xor_b64 s[76:77], exec, s[76:77]
; %bb.154:                              ;   in Loop: Header=BB4_130 Depth=2
	v_bfe_u32 v50, v51, 16, 1
	v_add3_u32 v50, v51, v50, s49
                                        ; implicit-def: $vgpr51
; %bb.155:                              ;   in Loop: Header=BB4_130 Depth=2
	s_andn2_saveexec_b64 s[76:77], s[76:77]
; %bb.156:                              ;   in Loop: Header=BB4_130 Depth=2
	v_or_b32_e32 v50, 0x10000, v51
	v_cmp_eq_u32_sdwa vcc, v51, v10 src0_sel:WORD_0 src1_sel:DWORD
	v_cndmask_b32_e32 v50, v50, v51, vcc
; %bb.157:                              ;   in Loop: Header=BB4_130 Depth=2
	s_or_b64 exec, exec, s[76:77]
	s_waitcnt vmcnt(0)
	v_lshlrev_b32_e32 v51, 16, v25
	v_lshlrev_b32_e32 v41, 16, v2
	v_add_f32_e32 v41, v51, v41
	v_and_b32_e32 v51, 0x7f800000, v41
	v_cmp_ne_u32_e32 vcc, s48, v51
                                        ; implicit-def: $vgpr51
	s_and_saveexec_b64 s[76:77], vcc
	s_xor_b64 s[76:77], exec, s[76:77]
; %bb.158:                              ;   in Loop: Header=BB4_130 Depth=2
	v_bfe_u32 v51, v41, 16, 1
	v_add3_u32 v51, v41, v51, s49
                                        ; implicit-def: $vgpr41
; %bb.159:                              ;   in Loop: Header=BB4_130 Depth=2
	s_andn2_saveexec_b64 s[76:77], s[76:77]
; %bb.160:                              ;   in Loop: Header=BB4_130 Depth=2
	v_or_b32_e32 v51, 0x10000, v41
	v_cmp_eq_u32_sdwa vcc, v41, v10 src0_sel:WORD_0 src1_sel:DWORD
	v_cndmask_b32_e32 v51, v51, v41, vcc
; %bb.161:                              ;   in Loop: Header=BB4_130 Depth=2
	s_or_b64 exec, exec, s[76:77]
	v_and_b32_e32 v25, 0xffff0000, v25
	v_and_b32_e32 v2, 0xffff0000, v2
	v_add_f32_e32 v25, v25, v2
	v_and_b32_e32 v2, 0x7f800000, v25
	v_cmp_ne_u32_e32 vcc, s48, v2
                                        ; implicit-def: $vgpr2
	s_and_saveexec_b64 s[76:77], vcc
	s_xor_b64 s[76:77], exec, s[76:77]
; %bb.162:                              ;   in Loop: Header=BB4_130 Depth=2
	v_bfe_u32 v2, v25, 16, 1
	v_add3_u32 v2, v25, v2, s49
                                        ; implicit-def: $vgpr25
; %bb.163:                              ;   in Loop: Header=BB4_130 Depth=2
	s_andn2_saveexec_b64 s[76:77], s[76:77]
; %bb.164:                              ;   in Loop: Header=BB4_130 Depth=2
	v_or_b32_e32 v2, 0x10000, v25
	v_cmp_eq_u32_sdwa vcc, v25, v10 src0_sel:WORD_0 src1_sel:DWORD
	v_cndmask_b32_e32 v2, v2, v25, vcc
; %bb.165:                              ;   in Loop: Header=BB4_130 Depth=2
	s_or_b64 exec, exec, s[76:77]
	v_lshrrev_b32_e32 v0, 16, v0
	v_lshrrev_b32_e32 v25, 16, v35
	v_and_or_b32 v58, v29, s50, v0
	v_lshrrev_b32_e32 v0, 16, v53
	v_and_or_b32 v59, v52, s50, v25
	v_and_or_b32 v60, v50, s50, v0
	v_lshrrev_b32_e32 v0, 16, v51
	v_and_or_b32 v61, v2, s50, v0
	buffer_store_dword v59, off, s[0:3], s33 offset:100
	buffer_store_dword v58, off, s[0:3], s33 offset:96
	;; [unrolled: 1-line block ×4, first 2 shown]
	buffer_load_dword v0, off, s[0:3], s33 offset:136 ; 4-byte Folded Reload
	s_nop 0
	global_store_dwordx4 v[21:22], v[58:61], off glc slc
	s_waitcnt vmcnt(1)
	v_add_co_u32_e32 v21, vcc, v0, v21
	buffer_load_dword v0, off, s[0:3], s33 offset:152 ; 4-byte Folded Reload
	s_waitcnt vmcnt(0)
	v_addc_co_u32_e32 v22, vcc, v0, v22, vcc
.LBB4_166:                              ;   in Loop: Header=BB4_130 Depth=2
	s_or_b64 exec, exec, s[22:23]
	v_add_co_u32_e32 v26, vcc, v26, v55
	v_addc_co_u32_e32 v27, vcc, v27, v40, vcc
	v_add_co_u32_e32 v30, vcc, v30, v55
	v_sub_u32_e32 v3, v3, v54
	v_addc_co_u32_e32 v34, vcc, v34, v40, vcc
	v_cmp_lt_i32_e64 s[76:77], 15, v3
	s_and_saveexec_b64 s[78:79], s[76:77]
	s_cbranch_execz .LBB4_169
; %bb.167:                              ;   in Loop: Header=BB4_130 Depth=2
	s_lshr_b32 s92, s33, 6
	s_addk_i32 s92, 0x60
	s_mov_b64 s[90:91], 0
	s_mov_b64 s[88:89], -1
.LBB4_168:                              ;   Parent Loop BB4_49 Depth=1
                                        ;     Parent Loop BB4_130 Depth=2
                                        ; =>    This Inner Loop Header: Depth=3
	s_cmp_eq_u32 s90, 1
	s_cselect_b64 s[22:23], -1, 0
	v_cndmask_b32_e64 v42, v27, v34, s[22:23]
	v_cndmask_b32_e64 v41, v26, v30, s[22:23]
	global_load_dwordx4 v[50:53], v[41:42], off glc slc
	v_mov_b32_e32 v0, s92
	s_cmp_eq_u32 s90, 0
	s_mov_b64 s[90:91], 1
	s_mov_b32 s92, s34
	s_waitcnt vmcnt(0)
	buffer_store_dword v51, v0, s[0:3], 0 offen offset:4
	buffer_store_dword v50, v0, s[0:3], 0 offen
	buffer_store_dword v53, v0, s[0:3], 0 offen offset:12
	buffer_store_dword v52, v0, s[0:3], 0 offen offset:8
	v_add_co_u32_e32 v0, vcc, s36, v41
	v_addc_co_u32_e32 v2, vcc, 0, v42, vcc
	s_cselect_b64 vcc, -1, 0
	v_cndmask_b32_e32 v27, v27, v2, vcc
	v_cndmask_b32_e32 v26, v26, v0, vcc
	v_cndmask_b32_e64 v34, v34, v2, s[22:23]
	v_cndmask_b32_e64 v30, v30, v0, s[22:23]
	s_and_b64 vcc, exec, s[88:89]
	s_mov_b64 s[88:89], 0
	s_cbranch_vccnz .LBB4_168
.LBB4_169:                              ;   in Loop: Header=BB4_130 Depth=2
	s_or_b64 exec, exec, s[78:79]
	buffer_load_dword v29, off, s[0:3], s33 offset:64
	buffer_load_dword v52, off, s[0:3], s33 offset:68
	buffer_load_dword v50, off, s[0:3], s33 offset:72
	buffer_load_dword v35, off, s[0:3], s33 offset:80
	buffer_load_dword v53, off, s[0:3], s33 offset:84
	buffer_load_dword v51, off, s[0:3], s33 offset:88
	buffer_load_dword v2, off, s[0:3], s33 offset:92
	buffer_load_dword v25, off, s[0:3], s33 offset:76
	s_waitcnt vmcnt(7)
	v_lshlrev_b32_e32 v0, 16, v29
	s_waitcnt vmcnt(4)
	v_lshlrev_b32_e32 v41, 16, v35
	v_add_f32_e32 v41, v0, v41
	v_and_b32_e32 v0, 0x7f800000, v41
	v_cmp_ne_u32_e32 vcc, s48, v0
                                        ; implicit-def: $vgpr0
	s_and_saveexec_b64 s[22:23], vcc
	s_xor_b64 s[22:23], exec, s[22:23]
; %bb.170:                              ;   in Loop: Header=BB4_130 Depth=2
	v_bfe_u32 v0, v41, 16, 1
	v_add3_u32 v0, v41, v0, s49
                                        ; implicit-def: $vgpr41
; %bb.171:                              ;   in Loop: Header=BB4_130 Depth=2
	s_andn2_saveexec_b64 s[22:23], s[22:23]
; %bb.172:                              ;   in Loop: Header=BB4_130 Depth=2
	v_or_b32_e32 v0, 0x10000, v41
	v_cmp_eq_u32_sdwa vcc, v41, v10 src0_sel:WORD_0 src1_sel:DWORD
	v_cndmask_b32_e32 v0, v0, v41, vcc
; %bb.173:                              ;   in Loop: Header=BB4_130 Depth=2
	s_or_b64 exec, exec, s[22:23]
	v_and_b32_e32 v29, 0xffff0000, v29
	v_and_b32_e32 v35, 0xffff0000, v35
	v_add_f32_e32 v35, v29, v35
	v_and_b32_e32 v29, 0x7f800000, v35
	v_cmp_ne_u32_e32 vcc, s48, v29
                                        ; implicit-def: $vgpr29
	s_and_saveexec_b64 s[22:23], vcc
	s_xor_b64 s[22:23], exec, s[22:23]
; %bb.174:                              ;   in Loop: Header=BB4_130 Depth=2
	v_bfe_u32 v29, v35, 16, 1
	v_add3_u32 v29, v35, v29, s49
                                        ; implicit-def: $vgpr35
; %bb.175:                              ;   in Loop: Header=BB4_130 Depth=2
	s_andn2_saveexec_b64 s[22:23], s[22:23]
; %bb.176:                              ;   in Loop: Header=BB4_130 Depth=2
	v_or_b32_e32 v29, 0x10000, v35
	v_cmp_eq_u32_sdwa vcc, v35, v10 src0_sel:WORD_0 src1_sel:DWORD
	v_cndmask_b32_e32 v29, v29, v35, vcc
; %bb.177:                              ;   in Loop: Header=BB4_130 Depth=2
	s_or_b64 exec, exec, s[22:23]
	v_lshlrev_b32_e32 v35, 16, v52
	s_waitcnt vmcnt(3)
	v_lshlrev_b32_e32 v41, 16, v53
	v_add_f32_e32 v41, v35, v41
	v_and_b32_e32 v35, 0x7f800000, v41
	v_cmp_ne_u32_e32 vcc, s48, v35
                                        ; implicit-def: $vgpr35
	s_and_saveexec_b64 s[22:23], vcc
	s_xor_b64 s[22:23], exec, s[22:23]
; %bb.178:                              ;   in Loop: Header=BB4_130 Depth=2
	v_bfe_u32 v35, v41, 16, 1
	v_add3_u32 v35, v41, v35, s49
                                        ; implicit-def: $vgpr41
; %bb.179:                              ;   in Loop: Header=BB4_130 Depth=2
	s_andn2_saveexec_b64 s[22:23], s[22:23]
; %bb.180:                              ;   in Loop: Header=BB4_130 Depth=2
	v_or_b32_e32 v35, 0x10000, v41
	v_cmp_eq_u32_sdwa vcc, v41, v10 src0_sel:WORD_0 src1_sel:DWORD
	v_cndmask_b32_e32 v35, v35, v41, vcc
; %bb.181:                              ;   in Loop: Header=BB4_130 Depth=2
	s_or_b64 exec, exec, s[22:23]
	v_and_b32_e32 v52, 0xffff0000, v52
	v_and_b32_e32 v53, 0xffff0000, v53
	v_add_f32_e32 v53, v52, v53
	v_and_b32_e32 v52, 0x7f800000, v53
	v_cmp_ne_u32_e32 vcc, s48, v52
                                        ; implicit-def: $vgpr52
	s_and_saveexec_b64 s[22:23], vcc
	s_xor_b64 s[22:23], exec, s[22:23]
; %bb.182:                              ;   in Loop: Header=BB4_130 Depth=2
	v_bfe_u32 v52, v53, 16, 1
	v_add3_u32 v52, v53, v52, s49
                                        ; implicit-def: $vgpr53
; %bb.183:                              ;   in Loop: Header=BB4_130 Depth=2
	s_andn2_saveexec_b64 s[22:23], s[22:23]
; %bb.184:                              ;   in Loop: Header=BB4_130 Depth=2
	v_or_b32_e32 v52, 0x10000, v53
	v_cmp_eq_u32_sdwa vcc, v53, v10 src0_sel:WORD_0 src1_sel:DWORD
	v_cndmask_b32_e32 v52, v52, v53, vcc
; %bb.185:                              ;   in Loop: Header=BB4_130 Depth=2
	s_or_b64 exec, exec, s[22:23]
	v_lshlrev_b32_e32 v53, 16, v50
	s_waitcnt vmcnt(2)
	v_lshlrev_b32_e32 v41, 16, v51
	v_add_f32_e32 v41, v53, v41
	v_and_b32_e32 v53, 0x7f800000, v41
	v_cmp_ne_u32_e32 vcc, s48, v53
                                        ; implicit-def: $vgpr53
	s_and_saveexec_b64 s[22:23], vcc
	s_xor_b64 s[22:23], exec, s[22:23]
; %bb.186:                              ;   in Loop: Header=BB4_130 Depth=2
	v_bfe_u32 v53, v41, 16, 1
	v_add3_u32 v53, v41, v53, s49
                                        ; implicit-def: $vgpr41
; %bb.187:                              ;   in Loop: Header=BB4_130 Depth=2
	s_andn2_saveexec_b64 s[22:23], s[22:23]
; %bb.188:                              ;   in Loop: Header=BB4_130 Depth=2
	v_or_b32_e32 v53, 0x10000, v41
	v_cmp_eq_u32_sdwa vcc, v41, v10 src0_sel:WORD_0 src1_sel:DWORD
	v_cndmask_b32_e32 v53, v53, v41, vcc
; %bb.189:                              ;   in Loop: Header=BB4_130 Depth=2
	s_or_b64 exec, exec, s[22:23]
	v_and_b32_e32 v50, 0xffff0000, v50
	v_and_b32_e32 v51, 0xffff0000, v51
	v_add_f32_e32 v51, v50, v51
	v_and_b32_e32 v50, 0x7f800000, v51
	v_cmp_ne_u32_e32 vcc, s48, v50
                                        ; implicit-def: $vgpr50
	s_and_saveexec_b64 s[22:23], vcc
	s_xor_b64 s[22:23], exec, s[22:23]
; %bb.190:                              ;   in Loop: Header=BB4_130 Depth=2
	v_bfe_u32 v50, v51, 16, 1
	v_add3_u32 v50, v51, v50, s49
                                        ; implicit-def: $vgpr51
; %bb.191:                              ;   in Loop: Header=BB4_130 Depth=2
	s_andn2_saveexec_b64 s[22:23], s[22:23]
; %bb.192:                              ;   in Loop: Header=BB4_130 Depth=2
	v_or_b32_e32 v50, 0x10000, v51
	v_cmp_eq_u32_sdwa vcc, v51, v10 src0_sel:WORD_0 src1_sel:DWORD
	v_cndmask_b32_e32 v50, v50, v51, vcc
; %bb.193:                              ;   in Loop: Header=BB4_130 Depth=2
	s_or_b64 exec, exec, s[22:23]
	s_waitcnt vmcnt(0)
	v_lshlrev_b32_e32 v51, 16, v25
	v_lshlrev_b32_e32 v41, 16, v2
	v_add_f32_e32 v41, v51, v41
	v_and_b32_e32 v51, 0x7f800000, v41
	v_cmp_ne_u32_e32 vcc, s48, v51
                                        ; implicit-def: $vgpr51
	s_and_saveexec_b64 s[22:23], vcc
	s_xor_b64 s[22:23], exec, s[22:23]
; %bb.194:                              ;   in Loop: Header=BB4_130 Depth=2
	v_bfe_u32 v51, v41, 16, 1
	v_add3_u32 v51, v41, v51, s49
                                        ; implicit-def: $vgpr41
; %bb.195:                              ;   in Loop: Header=BB4_130 Depth=2
	s_andn2_saveexec_b64 s[22:23], s[22:23]
; %bb.196:                              ;   in Loop: Header=BB4_130 Depth=2
	v_or_b32_e32 v51, 0x10000, v41
	v_cmp_eq_u32_sdwa vcc, v41, v10 src0_sel:WORD_0 src1_sel:DWORD
	v_cndmask_b32_e32 v51, v51, v41, vcc
; %bb.197:                              ;   in Loop: Header=BB4_130 Depth=2
	s_or_b64 exec, exec, s[22:23]
	v_and_b32_e32 v25, 0xffff0000, v25
	v_and_b32_e32 v2, 0xffff0000, v2
	v_add_f32_e32 v25, v25, v2
	v_and_b32_e32 v2, 0x7f800000, v25
	v_cmp_ne_u32_e32 vcc, s48, v2
                                        ; implicit-def: $vgpr2
	s_and_saveexec_b64 s[22:23], vcc
	s_xor_b64 s[22:23], exec, s[22:23]
; %bb.198:                              ;   in Loop: Header=BB4_130 Depth=2
	v_bfe_u32 v2, v25, 16, 1
	v_add3_u32 v2, v25, v2, s49
                                        ; implicit-def: $vgpr25
; %bb.199:                              ;   in Loop: Header=BB4_130 Depth=2
	s_andn2_saveexec_b64 s[22:23], s[22:23]
; %bb.200:                              ;   in Loop: Header=BB4_130 Depth=2
	v_or_b32_e32 v2, 0x10000, v25
	v_cmp_eq_u32_sdwa vcc, v25, v10 src0_sel:WORD_0 src1_sel:DWORD
	v_cndmask_b32_e32 v2, v2, v25, vcc
; %bb.201:                              ;   in Loop: Header=BB4_130 Depth=2
	s_or_b64 exec, exec, s[22:23]
	v_lshrrev_b32_e32 v0, 16, v0
	v_and_or_b32 v58, v29, s50, v0
	v_lshrrev_b32_e32 v0, 16, v53
	v_lshrrev_b32_e32 v25, 16, v35
	v_and_or_b32 v60, v50, s50, v0
	v_lshrrev_b32_e32 v0, 16, v51
	v_and_or_b32 v59, v52, s50, v25
	v_and_or_b32 v61, v2, s50, v0
	buffer_store_dword v59, off, s[0:3], s33 offset:68
	buffer_store_dword v58, off, s[0:3], s33 offset:64
	;; [unrolled: 1-line block ×4, first 2 shown]
	global_store_dwordx4 v[21:22], v[58:61], off glc slc
	v_add_co_u32_e32 v21, vcc, 0x400, v21
	v_sub_u32_e32 v24, v24, v28
	v_addc_co_u32_e32 v22, vcc, 0, v22, vcc
	s_and_saveexec_b64 s[22:23], s[76:77]
	s_cbranch_execz .LBB4_129
; %bb.202:                              ;   in Loop: Header=BB4_130 Depth=2
	v_add_co_u32_e32 v26, vcc, v26, v55
	v_addc_co_u32_e32 v27, vcc, v27, v40, vcc
	v_add_co_u32_e32 v30, vcc, v30, v55
	v_addc_co_u32_e32 v34, vcc, v34, v40, vcc
	v_add_co_u32_e32 v21, vcc, v21, v55
	v_addc_co_u32_e32 v22, vcc, v22, v40, vcc
	v_sub_u32_e32 v3, v3, v54
	v_sub_u32_e32 v24, v24, v28
	s_branch .LBB4_129
.LBB4_203:                              ;   in Loop: Header=BB4_49 Depth=1
	buffer_load_dword v0, off, s[0:3], s33 offset:200 ; 4-byte Folded Reload
	buffer_load_dword v34, off, s[0:3], s33 offset:204 ; 4-byte Folded Reload
	s_and_saveexec_b64 s[22:23], s[60:61]
	s_cbranch_execnz .LBB4_355
	s_branch .LBB4_438
.LBB4_204:                              ;   in Loop: Header=BB4_49 Depth=1
	s_or_b64 exec, exec, s[72:73]
	s_and_b64 s[72:73], s[74:75], exec
.LBB4_205:                              ;   in Loop: Header=BB4_49 Depth=1
	s_or_b64 exec, exec, s[62:63]
	s_and_saveexec_b64 s[22:23], s[72:73]
	s_cbranch_execz .LBB4_239
; %bb.206:                              ;   in Loop: Header=BB4_49 Depth=1
	buffer_load_dword v25, off, s[0:3], s33 offset:96
	buffer_load_dword v30, off, s[0:3], s33 offset:100
	;; [unrolled: 1-line block ×8, first 2 shown]
	s_waitcnt vmcnt(7)
	v_lshlrev_b32_e32 v0, 16, v25
	s_waitcnt vmcnt(4)
	v_lshlrev_b32_e32 v35, 16, v26
	v_add_f32_e32 v35, v0, v35
	v_and_b32_e32 v0, 0x7f800000, v35
	v_cmp_ne_u32_e32 vcc, s48, v0
                                        ; implicit-def: $vgpr0
	s_and_saveexec_b64 s[62:63], vcc
	s_xor_b64 s[62:63], exec, s[62:63]
; %bb.207:                              ;   in Loop: Header=BB4_49 Depth=1
	v_bfe_u32 v0, v35, 16, 1
	v_add3_u32 v0, v35, v0, s49
                                        ; implicit-def: $vgpr35
; %bb.208:                              ;   in Loop: Header=BB4_49 Depth=1
	s_andn2_saveexec_b64 s[62:63], s[62:63]
; %bb.209:                              ;   in Loop: Header=BB4_49 Depth=1
	v_or_b32_e32 v0, 0x10000, v35
	v_cmp_eq_u32_sdwa vcc, v35, v10 src0_sel:WORD_0 src1_sel:DWORD
	v_cndmask_b32_e32 v0, v0, v35, vcc
; %bb.210:                              ;   in Loop: Header=BB4_49 Depth=1
	s_or_b64 exec, exec, s[62:63]
	v_and_b32_e32 v25, 0xffff0000, v25
	v_and_b32_e32 v26, 0xffff0000, v26
	v_add_f32_e32 v26, v25, v26
	v_and_b32_e32 v25, 0x7f800000, v26
	v_cmp_ne_u32_e32 vcc, s48, v25
                                        ; implicit-def: $vgpr25
	s_and_saveexec_b64 s[62:63], vcc
	s_xor_b64 s[62:63], exec, s[62:63]
; %bb.211:                              ;   in Loop: Header=BB4_49 Depth=1
	v_bfe_u32 v25, v26, 16, 1
	v_add3_u32 v25, v26, v25, s49
                                        ; implicit-def: $vgpr26
; %bb.212:                              ;   in Loop: Header=BB4_49 Depth=1
	s_andn2_saveexec_b64 s[62:63], s[62:63]
; %bb.213:                              ;   in Loop: Header=BB4_49 Depth=1
	v_or_b32_e32 v25, 0x10000, v26
	v_cmp_eq_u32_sdwa vcc, v26, v10 src0_sel:WORD_0 src1_sel:DWORD
	v_cndmask_b32_e32 v25, v25, v26, vcc
; %bb.214:                              ;   in Loop: Header=BB4_49 Depth=1
	s_or_b64 exec, exec, s[62:63]
	v_lshlrev_b32_e32 v26, 16, v30
	s_waitcnt vmcnt(3)
	v_lshlrev_b32_e32 v35, 16, v34
	v_add_f32_e32 v35, v26, v35
	v_and_b32_e32 v26, 0x7f800000, v35
	v_cmp_ne_u32_e32 vcc, s48, v26
                                        ; implicit-def: $vgpr26
	s_and_saveexec_b64 s[62:63], vcc
	s_xor_b64 s[62:63], exec, s[62:63]
; %bb.215:                              ;   in Loop: Header=BB4_49 Depth=1
	v_bfe_u32 v26, v35, 16, 1
	v_add3_u32 v26, v35, v26, s49
                                        ; implicit-def: $vgpr35
; %bb.216:                              ;   in Loop: Header=BB4_49 Depth=1
	s_andn2_saveexec_b64 s[62:63], s[62:63]
; %bb.217:                              ;   in Loop: Header=BB4_49 Depth=1
	v_or_b32_e32 v26, 0x10000, v35
	v_cmp_eq_u32_sdwa vcc, v35, v10 src0_sel:WORD_0 src1_sel:DWORD
	v_cndmask_b32_e32 v26, v26, v35, vcc
; %bb.218:                              ;   in Loop: Header=BB4_49 Depth=1
	s_or_b64 exec, exec, s[62:63]
	v_and_b32_e32 v30, 0xffff0000, v30
	v_and_b32_e32 v34, 0xffff0000, v34
	v_add_f32_e32 v34, v30, v34
	v_and_b32_e32 v30, 0x7f800000, v34
	v_cmp_ne_u32_e32 vcc, s48, v30
                                        ; implicit-def: $vgpr30
	s_and_saveexec_b64 s[62:63], vcc
	s_xor_b64 s[62:63], exec, s[62:63]
; %bb.219:                              ;   in Loop: Header=BB4_49 Depth=1
	v_bfe_u32 v30, v34, 16, 1
	v_add3_u32 v30, v34, v30, s49
                                        ; implicit-def: $vgpr34
; %bb.220:                              ;   in Loop: Header=BB4_49 Depth=1
	s_andn2_saveexec_b64 s[62:63], s[62:63]
; %bb.221:                              ;   in Loop: Header=BB4_49 Depth=1
	v_or_b32_e32 v30, 0x10000, v34
	v_cmp_eq_u32_sdwa vcc, v34, v10 src0_sel:WORD_0 src1_sel:DWORD
	v_cndmask_b32_e32 v30, v30, v34, vcc
; %bb.222:                              ;   in Loop: Header=BB4_49 Depth=1
	s_or_b64 exec, exec, s[62:63]
	v_lshlrev_b32_e32 v34, 16, v27
	s_waitcnt vmcnt(2)
	v_lshlrev_b32_e32 v35, 16, v29
	v_add_f32_e32 v35, v34, v35
	v_and_b32_e32 v34, 0x7f800000, v35
	v_cmp_ne_u32_e32 vcc, s48, v34
                                        ; implicit-def: $vgpr34
	s_and_saveexec_b64 s[62:63], vcc
	s_xor_b64 s[62:63], exec, s[62:63]
; %bb.223:                              ;   in Loop: Header=BB4_49 Depth=1
	v_bfe_u32 v34, v35, 16, 1
	v_add3_u32 v34, v35, v34, s49
                                        ; implicit-def: $vgpr35
; %bb.224:                              ;   in Loop: Header=BB4_49 Depth=1
	s_andn2_saveexec_b64 s[62:63], s[62:63]
; %bb.225:                              ;   in Loop: Header=BB4_49 Depth=1
	v_or_b32_e32 v34, 0x10000, v35
	v_cmp_eq_u32_sdwa vcc, v35, v10 src0_sel:WORD_0 src1_sel:DWORD
	v_cndmask_b32_e32 v34, v34, v35, vcc
; %bb.226:                              ;   in Loop: Header=BB4_49 Depth=1
	s_or_b64 exec, exec, s[62:63]
	v_and_b32_e32 v27, 0xffff0000, v27
	v_and_b32_e32 v29, 0xffff0000, v29
	v_add_f32_e32 v29, v27, v29
	v_and_b32_e32 v27, 0x7f800000, v29
	v_cmp_ne_u32_e32 vcc, s48, v27
                                        ; implicit-def: $vgpr27
	s_and_saveexec_b64 s[62:63], vcc
	s_xor_b64 s[62:63], exec, s[62:63]
; %bb.227:                              ;   in Loop: Header=BB4_49 Depth=1
	v_bfe_u32 v27, v29, 16, 1
	v_add3_u32 v27, v29, v27, s49
                                        ; implicit-def: $vgpr29
; %bb.228:                              ;   in Loop: Header=BB4_49 Depth=1
	s_andn2_saveexec_b64 s[62:63], s[62:63]
; %bb.229:                              ;   in Loop: Header=BB4_49 Depth=1
	v_or_b32_e32 v27, 0x10000, v29
	v_cmp_eq_u32_sdwa vcc, v29, v10 src0_sel:WORD_0 src1_sel:DWORD
	v_cndmask_b32_e32 v27, v27, v29, vcc
; %bb.230:                              ;   in Loop: Header=BB4_49 Depth=1
	s_or_b64 exec, exec, s[62:63]
	s_waitcnt vmcnt(0)
	v_lshlrev_b32_e32 v29, 16, v3
	v_lshlrev_b32_e32 v35, 16, v2
	v_add_f32_e32 v35, v29, v35
	v_and_b32_e32 v29, 0x7f800000, v35
	v_cmp_ne_u32_e32 vcc, s48, v29
                                        ; implicit-def: $vgpr29
	s_and_saveexec_b64 s[62:63], vcc
	s_xor_b64 s[62:63], exec, s[62:63]
; %bb.231:                              ;   in Loop: Header=BB4_49 Depth=1
	v_bfe_u32 v29, v35, 16, 1
	v_add3_u32 v29, v35, v29, s49
                                        ; implicit-def: $vgpr35
; %bb.232:                              ;   in Loop: Header=BB4_49 Depth=1
	s_andn2_saveexec_b64 s[62:63], s[62:63]
; %bb.233:                              ;   in Loop: Header=BB4_49 Depth=1
	v_or_b32_e32 v29, 0x10000, v35
	v_cmp_eq_u32_sdwa vcc, v35, v10 src0_sel:WORD_0 src1_sel:DWORD
	v_cndmask_b32_e32 v29, v29, v35, vcc
; %bb.234:                              ;   in Loop: Header=BB4_49 Depth=1
	s_or_b64 exec, exec, s[62:63]
	v_and_b32_e32 v3, 0xffff0000, v3
	v_and_b32_e32 v2, 0xffff0000, v2
	v_add_f32_e32 v3, v3, v2
	v_and_b32_e32 v2, 0x7f800000, v3
	v_cmp_ne_u32_e32 vcc, s48, v2
                                        ; implicit-def: $vgpr2
	s_and_saveexec_b64 s[62:63], vcc
	s_xor_b64 s[62:63], exec, s[62:63]
; %bb.235:                              ;   in Loop: Header=BB4_49 Depth=1
	v_bfe_u32 v2, v3, 16, 1
	v_add3_u32 v2, v3, v2, s49
                                        ; implicit-def: $vgpr3
; %bb.236:                              ;   in Loop: Header=BB4_49 Depth=1
	s_andn2_saveexec_b64 s[62:63], s[62:63]
; %bb.237:                              ;   in Loop: Header=BB4_49 Depth=1
	v_or_b32_e32 v2, 0x10000, v3
	v_cmp_eq_u32_sdwa vcc, v3, v10 src0_sel:WORD_0 src1_sel:DWORD
	v_cndmask_b32_e32 v2, v2, v3, vcc
; %bb.238:                              ;   in Loop: Header=BB4_49 Depth=1
	s_or_b64 exec, exec, s[62:63]
	v_lshrrev_b32_e32 v0, 16, v0
	v_and_or_b32 v50, v25, s50, v0
	v_lshrrev_b32_e32 v0, 16, v34
	v_lshrrev_b32_e32 v3, 16, v26
	v_and_or_b32 v52, v27, s50, v0
	v_lshrrev_b32_e32 v0, 16, v29
	v_and_or_b32 v51, v30, s50, v3
	v_and_or_b32 v53, v2, s50, v0
	global_store_dwordx4 v[21:22], v[50:53], off glc slc
.LBB4_239:                              ;   in Loop: Header=BB4_49 Depth=1
	s_or_b64 exec, exec, s[22:23]
	v_and_b32_e32 v2, 14, v1
	v_cndmask_b32_e64 v3, v23, v2, s[20:21]
	v_cmp_ne_u32_e32 vcc, 0, v3
                                        ; implicit-def: $vgpr1
                                        ; implicit-def: $vgpr30
                                        ; implicit-def: $vgpr0
                                        ; implicit-def: $vgpr34
	s_and_saveexec_b64 s[62:63], vcc
	s_cbranch_execz .LBB4_354
; %bb.240:                              ;   in Loop: Header=BB4_49 Depth=1
	buffer_load_dword v1, off, s[0:3], s33 offset:204 ; 4-byte Folded Reload
	v_sub_u32_e32 v0, v23, v2
	v_cndmask_b32_e64 v0, 0, v0, s[20:21]
	v_cmp_lt_i32_e32 vcc, 0, v24
	v_add_u32_e32 v11, v0, v11
	v_cndmask_b32_e32 v0, 0, v28, vcc
	v_sub_u32_e32 v0, v0, v24
	v_ashrrev_i32_e32 v2, 31, v3
	v_lshrrev_b32_e32 v2, 22, v2
	v_add_u32_e32 v2, v3, v2
	v_and_b32_e32 v24, 0xfffffc00, v2
	v_sub_u32_e32 v26, v3, v24
	v_ashrrev_i32_e32 v22, 10, v2
	v_cmp_lt_i32_e64 s[20:21], 15, v26
	v_addc_co_u32_e64 v22, vcc, 0, v22, s[20:21]
	s_mov_b64 s[74:75], 0
	s_waitcnt vmcnt(0)
	v_lshl_add_u32 v0, v0, 6, v1
	v_ashrrev_i32_e32 v1, 31, v0
	v_lshrrev_b32_e32 v1, 26, v1
	v_add_u32_e32 v1, v0, v1
	v_ashrrev_i32_e32 v21, 6, v1
	v_and_b32_e32 v1, 0xffffffc0, v1
	v_sub_u32_e32 v23, v0, v1
	v_lshlrev_b32_e32 v0, 4, v23
	v_lshl_add_u32 v1, v21, 10, v0
	v_add_u32_e32 v0, v1, v11
	v_ashrrev_i32_e32 v2, 31, v0
	v_sub_u32_e32 v27, v22, v21
	v_add_co_u32_e32 v21, vcc, v0, v17
	v_sub_u32_e32 v1, v3, v1
	v_addc_co_u32_e32 v22, vcc, v2, v18, vcc
	v_cmp_lt_i32_e32 vcc, 15, v1
	s_and_saveexec_b64 s[72:73], vcc
	s_cbranch_execz .LBB4_317
; %bb.241:                              ;   in Loop: Header=BB4_49 Depth=1
	v_add_co_u32_e32 v30, vcc, v0, v15
	v_addc_co_u32_e32 v34, vcc, v2, v16, vcc
	s_waitcnt lgkmcnt(0)
	v_add_co_u32_e32 v19, vcc, v0, v19
	v_addc_co_u32_e32 v20, vcc, v2, v20, vcc
	s_mov_b64 s[78:79], 0
                                        ; implicit-def: $sgpr76_sgpr77
	s_branch .LBB4_243
.LBB4_242:                              ;   in Loop: Header=BB4_243 Depth=2
	s_or_b64 exec, exec, s[22:23]
	v_cmp_gt_i32_e32 vcc, 16, v1
	s_or_b64 s[74:75], vcc, s[74:75]
	s_andn2_b64 s[22:23], s[76:77], exec
	s_and_b64 s[76:77], s[78:79], exec
	s_or_b64 s[76:77], s[22:23], s[76:77]
	s_andn2_b64 exec, exec, s[74:75]
	s_cbranch_execz .LBB4_316
.LBB4_243:                              ;   Parent Loop BB4_49 Depth=1
                                        ; =>  This Loop Header: Depth=2
                                        ;       Child Loop BB4_244 Depth 3
                                        ;       Child Loop BB4_281 Depth 3
	s_lshr_b32 s92, s33, 6
	s_add_i32 s92, s92, 64
	s_mov_b64 s[88:89], -1
	s_mov_b64 s[90:91], 0
.LBB4_244:                              ;   Parent Loop BB4_49 Depth=1
                                        ;     Parent Loop BB4_243 Depth=2
                                        ; =>    This Inner Loop Header: Depth=3
	s_cmp_eq_u32 s90, 1
	s_cselect_b64 s[22:23], -1, 0
	v_cndmask_b32_e64 v42, v34, v20, s[22:23]
	v_cndmask_b32_e64 v41, v30, v19, s[22:23]
	global_load_dwordx4 v[50:53], v[41:42], off glc slc
	v_mov_b32_e32 v0, s92
	s_cmp_eq_u32 s90, 0
	s_mov_b64 s[90:91], 1
	s_mov_b32 s92, s38
	s_waitcnt vmcnt(0)
	buffer_store_dword v51, v0, s[0:3], 0 offen offset:4
	buffer_store_dword v50, v0, s[0:3], 0 offen
	buffer_store_dword v53, v0, s[0:3], 0 offen offset:12
	buffer_store_dword v52, v0, s[0:3], 0 offen offset:8
	v_add_co_u32_e32 v0, vcc, s36, v41
	v_addc_co_u32_e32 v2, vcc, 0, v42, vcc
	s_cselect_b64 vcc, -1, 0
	v_cndmask_b32_e32 v34, v34, v2, vcc
	v_cndmask_b32_e32 v30, v30, v0, vcc
	v_cndmask_b32_e64 v20, v20, v2, s[22:23]
	v_cndmask_b32_e64 v19, v19, v0, s[22:23]
	s_and_b64 vcc, exec, s[88:89]
	s_mov_b64 s[88:89], 0
	s_cbranch_vccnz .LBB4_244
; %bb.245:                              ;   in Loop: Header=BB4_243 Depth=2
	s_and_saveexec_b64 s[22:23], s[78:79]
	s_cbranch_execz .LBB4_279
; %bb.246:                              ;   in Loop: Header=BB4_243 Depth=2
	buffer_load_dword v29, off, s[0:3], s33 offset:96
	buffer_load_dword v52, off, s[0:3], s33 offset:100
	buffer_load_dword v50, off, s[0:3], s33 offset:104
	buffer_load_dword v35, off, s[0:3], s33 offset:112
	buffer_load_dword v53, off, s[0:3], s33 offset:116
	buffer_load_dword v51, off, s[0:3], s33 offset:120
	buffer_load_dword v2, off, s[0:3], s33 offset:124
	buffer_load_dword v25, off, s[0:3], s33 offset:108
	s_waitcnt vmcnt(7)
	v_lshlrev_b32_e32 v0, 16, v29
	s_waitcnt vmcnt(4)
	v_lshlrev_b32_e32 v41, 16, v35
	v_add_f32_e32 v41, v0, v41
	v_and_b32_e32 v0, 0x7f800000, v41
	v_cmp_ne_u32_e32 vcc, s48, v0
                                        ; implicit-def: $vgpr0
	s_and_saveexec_b64 s[78:79], vcc
	s_xor_b64 s[78:79], exec, s[78:79]
; %bb.247:                              ;   in Loop: Header=BB4_243 Depth=2
	v_bfe_u32 v0, v41, 16, 1
	v_add3_u32 v0, v41, v0, s49
                                        ; implicit-def: $vgpr41
; %bb.248:                              ;   in Loop: Header=BB4_243 Depth=2
	s_andn2_saveexec_b64 s[78:79], s[78:79]
; %bb.249:                              ;   in Loop: Header=BB4_243 Depth=2
	v_or_b32_e32 v0, 0x10000, v41
	v_cmp_eq_u32_sdwa vcc, v41, v10 src0_sel:WORD_0 src1_sel:DWORD
	v_cndmask_b32_e32 v0, v0, v41, vcc
; %bb.250:                              ;   in Loop: Header=BB4_243 Depth=2
	s_or_b64 exec, exec, s[78:79]
	v_and_b32_e32 v29, 0xffff0000, v29
	v_and_b32_e32 v35, 0xffff0000, v35
	v_add_f32_e32 v35, v29, v35
	v_and_b32_e32 v29, 0x7f800000, v35
	v_cmp_ne_u32_e32 vcc, s48, v29
                                        ; implicit-def: $vgpr29
	s_and_saveexec_b64 s[78:79], vcc
	s_xor_b64 s[78:79], exec, s[78:79]
; %bb.251:                              ;   in Loop: Header=BB4_243 Depth=2
	v_bfe_u32 v29, v35, 16, 1
	v_add3_u32 v29, v35, v29, s49
                                        ; implicit-def: $vgpr35
; %bb.252:                              ;   in Loop: Header=BB4_243 Depth=2
	s_andn2_saveexec_b64 s[78:79], s[78:79]
; %bb.253:                              ;   in Loop: Header=BB4_243 Depth=2
	v_or_b32_e32 v29, 0x10000, v35
	v_cmp_eq_u32_sdwa vcc, v35, v10 src0_sel:WORD_0 src1_sel:DWORD
	v_cndmask_b32_e32 v29, v29, v35, vcc
; %bb.254:                              ;   in Loop: Header=BB4_243 Depth=2
	s_or_b64 exec, exec, s[78:79]
	v_lshlrev_b32_e32 v35, 16, v52
	s_waitcnt vmcnt(3)
	v_lshlrev_b32_e32 v41, 16, v53
	v_add_f32_e32 v41, v35, v41
	v_and_b32_e32 v35, 0x7f800000, v41
	v_cmp_ne_u32_e32 vcc, s48, v35
                                        ; implicit-def: $vgpr35
	s_and_saveexec_b64 s[78:79], vcc
	s_xor_b64 s[78:79], exec, s[78:79]
; %bb.255:                              ;   in Loop: Header=BB4_243 Depth=2
	v_bfe_u32 v35, v41, 16, 1
	v_add3_u32 v35, v41, v35, s49
                                        ; implicit-def: $vgpr41
; %bb.256:                              ;   in Loop: Header=BB4_243 Depth=2
	s_andn2_saveexec_b64 s[78:79], s[78:79]
; %bb.257:                              ;   in Loop: Header=BB4_243 Depth=2
	v_or_b32_e32 v35, 0x10000, v41
	v_cmp_eq_u32_sdwa vcc, v41, v10 src0_sel:WORD_0 src1_sel:DWORD
	v_cndmask_b32_e32 v35, v35, v41, vcc
; %bb.258:                              ;   in Loop: Header=BB4_243 Depth=2
	s_or_b64 exec, exec, s[78:79]
	v_and_b32_e32 v52, 0xffff0000, v52
	v_and_b32_e32 v53, 0xffff0000, v53
	v_add_f32_e32 v53, v52, v53
	v_and_b32_e32 v52, 0x7f800000, v53
	v_cmp_ne_u32_e32 vcc, s48, v52
                                        ; implicit-def: $vgpr52
	s_and_saveexec_b64 s[78:79], vcc
	s_xor_b64 s[78:79], exec, s[78:79]
; %bb.259:                              ;   in Loop: Header=BB4_243 Depth=2
	v_bfe_u32 v52, v53, 16, 1
	v_add3_u32 v52, v53, v52, s49
                                        ; implicit-def: $vgpr53
; %bb.260:                              ;   in Loop: Header=BB4_243 Depth=2
	s_andn2_saveexec_b64 s[78:79], s[78:79]
; %bb.261:                              ;   in Loop: Header=BB4_243 Depth=2
	v_or_b32_e32 v52, 0x10000, v53
	v_cmp_eq_u32_sdwa vcc, v53, v10 src0_sel:WORD_0 src1_sel:DWORD
	v_cndmask_b32_e32 v52, v52, v53, vcc
; %bb.262:                              ;   in Loop: Header=BB4_243 Depth=2
	s_or_b64 exec, exec, s[78:79]
	v_lshlrev_b32_e32 v53, 16, v50
	s_waitcnt vmcnt(2)
	v_lshlrev_b32_e32 v41, 16, v51
	v_add_f32_e32 v41, v53, v41
	v_and_b32_e32 v53, 0x7f800000, v41
	v_cmp_ne_u32_e32 vcc, s48, v53
                                        ; implicit-def: $vgpr53
	s_and_saveexec_b64 s[78:79], vcc
	s_xor_b64 s[78:79], exec, s[78:79]
; %bb.263:                              ;   in Loop: Header=BB4_243 Depth=2
	v_bfe_u32 v53, v41, 16, 1
	v_add3_u32 v53, v41, v53, s49
                                        ; implicit-def: $vgpr41
; %bb.264:                              ;   in Loop: Header=BB4_243 Depth=2
	s_andn2_saveexec_b64 s[78:79], s[78:79]
; %bb.265:                              ;   in Loop: Header=BB4_243 Depth=2
	v_or_b32_e32 v53, 0x10000, v41
	v_cmp_eq_u32_sdwa vcc, v41, v10 src0_sel:WORD_0 src1_sel:DWORD
	v_cndmask_b32_e32 v53, v53, v41, vcc
; %bb.266:                              ;   in Loop: Header=BB4_243 Depth=2
	s_or_b64 exec, exec, s[78:79]
	v_and_b32_e32 v50, 0xffff0000, v50
	v_and_b32_e32 v51, 0xffff0000, v51
	v_add_f32_e32 v51, v50, v51
	v_and_b32_e32 v50, 0x7f800000, v51
	v_cmp_ne_u32_e32 vcc, s48, v50
                                        ; implicit-def: $vgpr50
	s_and_saveexec_b64 s[78:79], vcc
	s_xor_b64 s[78:79], exec, s[78:79]
; %bb.267:                              ;   in Loop: Header=BB4_243 Depth=2
	v_bfe_u32 v50, v51, 16, 1
	v_add3_u32 v50, v51, v50, s49
                                        ; implicit-def: $vgpr51
; %bb.268:                              ;   in Loop: Header=BB4_243 Depth=2
	s_andn2_saveexec_b64 s[78:79], s[78:79]
; %bb.269:                              ;   in Loop: Header=BB4_243 Depth=2
	v_or_b32_e32 v50, 0x10000, v51
	v_cmp_eq_u32_sdwa vcc, v51, v10 src0_sel:WORD_0 src1_sel:DWORD
	v_cndmask_b32_e32 v50, v50, v51, vcc
; %bb.270:                              ;   in Loop: Header=BB4_243 Depth=2
	s_or_b64 exec, exec, s[78:79]
	s_waitcnt vmcnt(0)
	v_lshlrev_b32_e32 v51, 16, v25
	v_lshlrev_b32_e32 v41, 16, v2
	v_add_f32_e32 v41, v51, v41
	v_and_b32_e32 v51, 0x7f800000, v41
	v_cmp_ne_u32_e32 vcc, s48, v51
                                        ; implicit-def: $vgpr51
	s_and_saveexec_b64 s[78:79], vcc
	s_xor_b64 s[78:79], exec, s[78:79]
; %bb.271:                              ;   in Loop: Header=BB4_243 Depth=2
	v_bfe_u32 v51, v41, 16, 1
	v_add3_u32 v51, v41, v51, s49
                                        ; implicit-def: $vgpr41
; %bb.272:                              ;   in Loop: Header=BB4_243 Depth=2
	s_andn2_saveexec_b64 s[78:79], s[78:79]
; %bb.273:                              ;   in Loop: Header=BB4_243 Depth=2
	v_or_b32_e32 v51, 0x10000, v41
	v_cmp_eq_u32_sdwa vcc, v41, v10 src0_sel:WORD_0 src1_sel:DWORD
	v_cndmask_b32_e32 v51, v51, v41, vcc
; %bb.274:                              ;   in Loop: Header=BB4_243 Depth=2
	s_or_b64 exec, exec, s[78:79]
	v_and_b32_e32 v25, 0xffff0000, v25
	v_and_b32_e32 v2, 0xffff0000, v2
	v_add_f32_e32 v25, v25, v2
	v_and_b32_e32 v2, 0x7f800000, v25
	v_cmp_ne_u32_e32 vcc, s48, v2
                                        ; implicit-def: $vgpr2
	s_and_saveexec_b64 s[78:79], vcc
	s_xor_b64 s[78:79], exec, s[78:79]
; %bb.275:                              ;   in Loop: Header=BB4_243 Depth=2
	v_bfe_u32 v2, v25, 16, 1
	v_add3_u32 v2, v25, v2, s49
                                        ; implicit-def: $vgpr25
; %bb.276:                              ;   in Loop: Header=BB4_243 Depth=2
	s_andn2_saveexec_b64 s[78:79], s[78:79]
; %bb.277:                              ;   in Loop: Header=BB4_243 Depth=2
	v_or_b32_e32 v2, 0x10000, v25
	v_cmp_eq_u32_sdwa vcc, v25, v10 src0_sel:WORD_0 src1_sel:DWORD
	v_cndmask_b32_e32 v2, v2, v25, vcc
; %bb.278:                              ;   in Loop: Header=BB4_243 Depth=2
	s_or_b64 exec, exec, s[78:79]
	v_lshrrev_b32_e32 v0, 16, v0
	v_lshrrev_b32_e32 v25, 16, v35
	v_and_or_b32 v58, v29, s50, v0
	v_lshrrev_b32_e32 v0, 16, v53
	v_and_or_b32 v59, v52, s50, v25
	v_and_or_b32 v60, v50, s50, v0
	v_lshrrev_b32_e32 v0, 16, v51
	v_and_or_b32 v61, v2, s50, v0
	buffer_store_dword v59, off, s[0:3], s33 offset:100
	buffer_store_dword v58, off, s[0:3], s33 offset:96
	;; [unrolled: 1-line block ×4, first 2 shown]
	buffer_load_dword v0, off, s[0:3], s33 offset:136 ; 4-byte Folded Reload
	s_nop 0
	global_store_dwordx4 v[21:22], v[58:61], off glc slc
	s_waitcnt vmcnt(1)
	v_add_co_u32_e32 v21, vcc, v0, v21
	buffer_load_dword v0, off, s[0:3], s33 offset:152 ; 4-byte Folded Reload
	s_waitcnt vmcnt(0)
	v_addc_co_u32_e32 v22, vcc, v0, v22, vcc
.LBB4_279:                              ;   in Loop: Header=BB4_243 Depth=2
	s_or_b64 exec, exec, s[22:23]
	v_add_co_u32_e32 v30, vcc, v30, v55
	v_addc_co_u32_e32 v34, vcc, v34, v40, vcc
	v_add_co_u32_e32 v19, vcc, v19, v55
	v_sub_u32_e32 v1, v1, v54
	v_addc_co_u32_e32 v20, vcc, v20, v40, vcc
	v_cmp_lt_i32_e64 s[78:79], 15, v1
	s_and_saveexec_b64 s[88:89], s[78:79]
	s_cbranch_execz .LBB4_282
; %bb.280:                              ;   in Loop: Header=BB4_243 Depth=2
	s_lshr_b32 s94, s33, 6
	s_addk_i32 s94, 0x60
	s_mov_b64 s[92:93], 0
	s_mov_b64 s[90:91], -1
.LBB4_281:                              ;   Parent Loop BB4_49 Depth=1
                                        ;     Parent Loop BB4_243 Depth=2
                                        ; =>    This Inner Loop Header: Depth=3
	s_cmp_eq_u32 s92, 1
	s_cselect_b64 s[22:23], -1, 0
	v_cndmask_b32_e64 v42, v34, v20, s[22:23]
	v_cndmask_b32_e64 v41, v30, v19, s[22:23]
	global_load_dwordx4 v[50:53], v[41:42], off glc slc
	v_mov_b32_e32 v0, s94
	s_cmp_eq_u32 s92, 0
	s_mov_b64 s[92:93], 1
	s_mov_b32 s94, s37
	s_waitcnt vmcnt(0)
	buffer_store_dword v51, v0, s[0:3], 0 offen offset:4
	buffer_store_dword v50, v0, s[0:3], 0 offen
	buffer_store_dword v53, v0, s[0:3], 0 offen offset:12
	buffer_store_dword v52, v0, s[0:3], 0 offen offset:8
	v_add_co_u32_e32 v0, vcc, s36, v41
	v_addc_co_u32_e32 v2, vcc, 0, v42, vcc
	s_cselect_b64 vcc, -1, 0
	v_cndmask_b32_e32 v34, v34, v2, vcc
	v_cndmask_b32_e32 v30, v30, v0, vcc
	v_cndmask_b32_e64 v20, v20, v2, s[22:23]
	v_cndmask_b32_e64 v19, v19, v0, s[22:23]
	s_and_b64 vcc, exec, s[90:91]
	s_mov_b64 s[90:91], 0
	s_cbranch_vccnz .LBB4_281
.LBB4_282:                              ;   in Loop: Header=BB4_243 Depth=2
	s_or_b64 exec, exec, s[88:89]
	buffer_load_dword v29, off, s[0:3], s33 offset:64
	buffer_load_dword v52, off, s[0:3], s33 offset:68
	;; [unrolled: 1-line block ×8, first 2 shown]
	s_waitcnt vmcnt(7)
	v_lshlrev_b32_e32 v0, 16, v29
	s_waitcnt vmcnt(4)
	v_lshlrev_b32_e32 v41, 16, v35
	v_add_f32_e32 v41, v0, v41
	v_and_b32_e32 v0, 0x7f800000, v41
	v_cmp_ne_u32_e32 vcc, s48, v0
                                        ; implicit-def: $vgpr0
	s_and_saveexec_b64 s[22:23], vcc
	s_xor_b64 s[22:23], exec, s[22:23]
; %bb.283:                              ;   in Loop: Header=BB4_243 Depth=2
	v_bfe_u32 v0, v41, 16, 1
	v_add3_u32 v0, v41, v0, s49
                                        ; implicit-def: $vgpr41
; %bb.284:                              ;   in Loop: Header=BB4_243 Depth=2
	s_andn2_saveexec_b64 s[22:23], s[22:23]
; %bb.285:                              ;   in Loop: Header=BB4_243 Depth=2
	v_or_b32_e32 v0, 0x10000, v41
	v_cmp_eq_u32_sdwa vcc, v41, v10 src0_sel:WORD_0 src1_sel:DWORD
	v_cndmask_b32_e32 v0, v0, v41, vcc
; %bb.286:                              ;   in Loop: Header=BB4_243 Depth=2
	s_or_b64 exec, exec, s[22:23]
	v_and_b32_e32 v29, 0xffff0000, v29
	v_and_b32_e32 v35, 0xffff0000, v35
	v_add_f32_e32 v35, v29, v35
	v_and_b32_e32 v29, 0x7f800000, v35
	v_cmp_ne_u32_e32 vcc, s48, v29
                                        ; implicit-def: $vgpr29
	s_and_saveexec_b64 s[22:23], vcc
	s_xor_b64 s[22:23], exec, s[22:23]
; %bb.287:                              ;   in Loop: Header=BB4_243 Depth=2
	v_bfe_u32 v29, v35, 16, 1
	v_add3_u32 v29, v35, v29, s49
                                        ; implicit-def: $vgpr35
; %bb.288:                              ;   in Loop: Header=BB4_243 Depth=2
	s_andn2_saveexec_b64 s[22:23], s[22:23]
; %bb.289:                              ;   in Loop: Header=BB4_243 Depth=2
	v_or_b32_e32 v29, 0x10000, v35
	v_cmp_eq_u32_sdwa vcc, v35, v10 src0_sel:WORD_0 src1_sel:DWORD
	v_cndmask_b32_e32 v29, v29, v35, vcc
; %bb.290:                              ;   in Loop: Header=BB4_243 Depth=2
	s_or_b64 exec, exec, s[22:23]
	v_lshlrev_b32_e32 v35, 16, v52
	s_waitcnt vmcnt(3)
	v_lshlrev_b32_e32 v41, 16, v53
	v_add_f32_e32 v41, v35, v41
	v_and_b32_e32 v35, 0x7f800000, v41
	v_cmp_ne_u32_e32 vcc, s48, v35
                                        ; implicit-def: $vgpr35
	s_and_saveexec_b64 s[22:23], vcc
	s_xor_b64 s[22:23], exec, s[22:23]
; %bb.291:                              ;   in Loop: Header=BB4_243 Depth=2
	v_bfe_u32 v35, v41, 16, 1
	v_add3_u32 v35, v41, v35, s49
                                        ; implicit-def: $vgpr41
; %bb.292:                              ;   in Loop: Header=BB4_243 Depth=2
	s_andn2_saveexec_b64 s[22:23], s[22:23]
; %bb.293:                              ;   in Loop: Header=BB4_243 Depth=2
	v_or_b32_e32 v35, 0x10000, v41
	v_cmp_eq_u32_sdwa vcc, v41, v10 src0_sel:WORD_0 src1_sel:DWORD
	v_cndmask_b32_e32 v35, v35, v41, vcc
; %bb.294:                              ;   in Loop: Header=BB4_243 Depth=2
	s_or_b64 exec, exec, s[22:23]
	v_and_b32_e32 v52, 0xffff0000, v52
	v_and_b32_e32 v53, 0xffff0000, v53
	v_add_f32_e32 v53, v52, v53
	v_and_b32_e32 v52, 0x7f800000, v53
	v_cmp_ne_u32_e32 vcc, s48, v52
                                        ; implicit-def: $vgpr52
	s_and_saveexec_b64 s[22:23], vcc
	s_xor_b64 s[22:23], exec, s[22:23]
; %bb.295:                              ;   in Loop: Header=BB4_243 Depth=2
	v_bfe_u32 v52, v53, 16, 1
	v_add3_u32 v52, v53, v52, s49
                                        ; implicit-def: $vgpr53
; %bb.296:                              ;   in Loop: Header=BB4_243 Depth=2
	s_andn2_saveexec_b64 s[22:23], s[22:23]
; %bb.297:                              ;   in Loop: Header=BB4_243 Depth=2
	v_or_b32_e32 v52, 0x10000, v53
	v_cmp_eq_u32_sdwa vcc, v53, v10 src0_sel:WORD_0 src1_sel:DWORD
	v_cndmask_b32_e32 v52, v52, v53, vcc
; %bb.298:                              ;   in Loop: Header=BB4_243 Depth=2
	s_or_b64 exec, exec, s[22:23]
	v_lshlrev_b32_e32 v53, 16, v50
	s_waitcnt vmcnt(2)
	v_lshlrev_b32_e32 v41, 16, v51
	v_add_f32_e32 v41, v53, v41
	v_and_b32_e32 v53, 0x7f800000, v41
	v_cmp_ne_u32_e32 vcc, s48, v53
                                        ; implicit-def: $vgpr53
	s_and_saveexec_b64 s[22:23], vcc
	s_xor_b64 s[22:23], exec, s[22:23]
; %bb.299:                              ;   in Loop: Header=BB4_243 Depth=2
	v_bfe_u32 v53, v41, 16, 1
	v_add3_u32 v53, v41, v53, s49
                                        ; implicit-def: $vgpr41
; %bb.300:                              ;   in Loop: Header=BB4_243 Depth=2
	s_andn2_saveexec_b64 s[22:23], s[22:23]
; %bb.301:                              ;   in Loop: Header=BB4_243 Depth=2
	v_or_b32_e32 v53, 0x10000, v41
	v_cmp_eq_u32_sdwa vcc, v41, v10 src0_sel:WORD_0 src1_sel:DWORD
	v_cndmask_b32_e32 v53, v53, v41, vcc
; %bb.302:                              ;   in Loop: Header=BB4_243 Depth=2
	s_or_b64 exec, exec, s[22:23]
	v_and_b32_e32 v50, 0xffff0000, v50
	v_and_b32_e32 v51, 0xffff0000, v51
	v_add_f32_e32 v51, v50, v51
	v_and_b32_e32 v50, 0x7f800000, v51
	v_cmp_ne_u32_e32 vcc, s48, v50
                                        ; implicit-def: $vgpr50
	s_and_saveexec_b64 s[22:23], vcc
	s_xor_b64 s[22:23], exec, s[22:23]
; %bb.303:                              ;   in Loop: Header=BB4_243 Depth=2
	v_bfe_u32 v50, v51, 16, 1
	v_add3_u32 v50, v51, v50, s49
                                        ; implicit-def: $vgpr51
; %bb.304:                              ;   in Loop: Header=BB4_243 Depth=2
	s_andn2_saveexec_b64 s[22:23], s[22:23]
; %bb.305:                              ;   in Loop: Header=BB4_243 Depth=2
	v_or_b32_e32 v50, 0x10000, v51
	v_cmp_eq_u32_sdwa vcc, v51, v10 src0_sel:WORD_0 src1_sel:DWORD
	v_cndmask_b32_e32 v50, v50, v51, vcc
; %bb.306:                              ;   in Loop: Header=BB4_243 Depth=2
	s_or_b64 exec, exec, s[22:23]
	s_waitcnt vmcnt(0)
	v_lshlrev_b32_e32 v51, 16, v25
	v_lshlrev_b32_e32 v41, 16, v2
	v_add_f32_e32 v41, v51, v41
	v_and_b32_e32 v51, 0x7f800000, v41
	v_cmp_ne_u32_e32 vcc, s48, v51
                                        ; implicit-def: $vgpr51
	s_and_saveexec_b64 s[22:23], vcc
	s_xor_b64 s[22:23], exec, s[22:23]
; %bb.307:                              ;   in Loop: Header=BB4_243 Depth=2
	v_bfe_u32 v51, v41, 16, 1
	v_add3_u32 v51, v41, v51, s49
                                        ; implicit-def: $vgpr41
; %bb.308:                              ;   in Loop: Header=BB4_243 Depth=2
	s_andn2_saveexec_b64 s[22:23], s[22:23]
; %bb.309:                              ;   in Loop: Header=BB4_243 Depth=2
	v_or_b32_e32 v51, 0x10000, v41
	v_cmp_eq_u32_sdwa vcc, v41, v10 src0_sel:WORD_0 src1_sel:DWORD
	v_cndmask_b32_e32 v51, v51, v41, vcc
; %bb.310:                              ;   in Loop: Header=BB4_243 Depth=2
	s_or_b64 exec, exec, s[22:23]
	v_and_b32_e32 v25, 0xffff0000, v25
	v_and_b32_e32 v2, 0xffff0000, v2
	v_add_f32_e32 v25, v25, v2
	v_and_b32_e32 v2, 0x7f800000, v25
	v_cmp_ne_u32_e32 vcc, s48, v2
                                        ; implicit-def: $vgpr2
	s_and_saveexec_b64 s[22:23], vcc
	s_xor_b64 s[22:23], exec, s[22:23]
; %bb.311:                              ;   in Loop: Header=BB4_243 Depth=2
	v_bfe_u32 v2, v25, 16, 1
	v_add3_u32 v2, v25, v2, s49
                                        ; implicit-def: $vgpr25
; %bb.312:                              ;   in Loop: Header=BB4_243 Depth=2
	s_andn2_saveexec_b64 s[22:23], s[22:23]
; %bb.313:                              ;   in Loop: Header=BB4_243 Depth=2
	v_or_b32_e32 v2, 0x10000, v25
	v_cmp_eq_u32_sdwa vcc, v25, v10 src0_sel:WORD_0 src1_sel:DWORD
	v_cndmask_b32_e32 v2, v2, v25, vcc
; %bb.314:                              ;   in Loop: Header=BB4_243 Depth=2
	s_or_b64 exec, exec, s[22:23]
	v_lshrrev_b32_e32 v0, 16, v0
	v_and_or_b32 v58, v29, s50, v0
	v_lshrrev_b32_e32 v0, 16, v53
	v_lshrrev_b32_e32 v25, 16, v35
	v_and_or_b32 v60, v50, s50, v0
	v_lshrrev_b32_e32 v0, 16, v51
	v_and_or_b32 v59, v52, s50, v25
	v_and_or_b32 v61, v2, s50, v0
	buffer_store_dword v59, off, s[0:3], s33 offset:68
	buffer_store_dword v58, off, s[0:3], s33 offset:64
	;; [unrolled: 1-line block ×4, first 2 shown]
	global_store_dwordx4 v[21:22], v[58:61], off glc slc
	v_add_co_u32_e32 v21, vcc, 0x400, v21
	v_sub_u32_e32 v27, v27, v28
	v_addc_co_u32_e32 v22, vcc, 0, v22, vcc
	s_and_saveexec_b64 s[22:23], s[78:79]
	s_cbranch_execz .LBB4_242
; %bb.315:                              ;   in Loop: Header=BB4_243 Depth=2
	v_add_co_u32_e32 v30, vcc, v30, v55
	v_addc_co_u32_e32 v34, vcc, v34, v40, vcc
	v_add_co_u32_e32 v19, vcc, v19, v55
	v_addc_co_u32_e32 v20, vcc, v20, v40, vcc
	;; [unrolled: 2-line block ×3, first 2 shown]
	v_sub_u32_e32 v1, v1, v54
	v_sub_u32_e32 v27, v27, v28
	s_branch .LBB4_242
.LBB4_316:                              ;   in Loop: Header=BB4_49 Depth=1
	s_or_b64 exec, exec, s[74:75]
	s_and_b64 s[74:75], s[76:77], exec
.LBB4_317:                              ;   in Loop: Header=BB4_49 Depth=1
	s_or_b64 exec, exec, s[72:73]
	s_and_saveexec_b64 s[22:23], s[74:75]
	s_cbranch_execz .LBB4_351
; %bb.318:                              ;   in Loop: Header=BB4_49 Depth=1
	s_waitcnt lgkmcnt(0)
	buffer_load_dword v19, off, s[0:3], s33 offset:96
	buffer_load_dword v30, off, s[0:3], s33 offset:100
	;; [unrolled: 1-line block ×8, first 2 shown]
	s_waitcnt vmcnt(7)
	v_lshlrev_b32_e32 v0, 16, v19
	s_waitcnt vmcnt(4)
	v_lshlrev_b32_e32 v35, 16, v20
	v_add_f32_e32 v35, v0, v35
	v_and_b32_e32 v0, 0x7f800000, v35
	v_cmp_ne_u32_e32 vcc, s48, v0
                                        ; implicit-def: $vgpr0
	s_and_saveexec_b64 s[72:73], vcc
	s_xor_b64 s[72:73], exec, s[72:73]
; %bb.319:                              ;   in Loop: Header=BB4_49 Depth=1
	v_bfe_u32 v0, v35, 16, 1
	v_add3_u32 v0, v35, v0, s49
                                        ; implicit-def: $vgpr35
; %bb.320:                              ;   in Loop: Header=BB4_49 Depth=1
	s_andn2_saveexec_b64 s[72:73], s[72:73]
; %bb.321:                              ;   in Loop: Header=BB4_49 Depth=1
	v_or_b32_e32 v0, 0x10000, v35
	v_cmp_eq_u32_sdwa vcc, v35, v10 src0_sel:WORD_0 src1_sel:DWORD
	v_cndmask_b32_e32 v0, v0, v35, vcc
; %bb.322:                              ;   in Loop: Header=BB4_49 Depth=1
	s_or_b64 exec, exec, s[72:73]
	v_and_b32_e32 v19, 0xffff0000, v19
	v_and_b32_e32 v20, 0xffff0000, v20
	v_add_f32_e32 v20, v19, v20
	v_and_b32_e32 v19, 0x7f800000, v20
	v_cmp_ne_u32_e32 vcc, s48, v19
                                        ; implicit-def: $vgpr19
	s_and_saveexec_b64 s[72:73], vcc
	s_xor_b64 s[72:73], exec, s[72:73]
; %bb.323:                              ;   in Loop: Header=BB4_49 Depth=1
	v_bfe_u32 v19, v20, 16, 1
	v_add3_u32 v19, v20, v19, s49
                                        ; implicit-def: $vgpr20
; %bb.324:                              ;   in Loop: Header=BB4_49 Depth=1
	s_andn2_saveexec_b64 s[72:73], s[72:73]
; %bb.325:                              ;   in Loop: Header=BB4_49 Depth=1
	v_or_b32_e32 v19, 0x10000, v20
	v_cmp_eq_u32_sdwa vcc, v20, v10 src0_sel:WORD_0 src1_sel:DWORD
	v_cndmask_b32_e32 v19, v19, v20, vcc
; %bb.326:                              ;   in Loop: Header=BB4_49 Depth=1
	s_or_b64 exec, exec, s[72:73]
	v_lshlrev_b32_e32 v20, 16, v30
	s_waitcnt vmcnt(3)
	v_lshlrev_b32_e32 v35, 16, v34
	v_add_f32_e32 v35, v20, v35
	v_and_b32_e32 v20, 0x7f800000, v35
	v_cmp_ne_u32_e32 vcc, s48, v20
                                        ; implicit-def: $vgpr20
	s_and_saveexec_b64 s[72:73], vcc
	s_xor_b64 s[72:73], exec, s[72:73]
; %bb.327:                              ;   in Loop: Header=BB4_49 Depth=1
	v_bfe_u32 v20, v35, 16, 1
	v_add3_u32 v20, v35, v20, s49
                                        ; implicit-def: $vgpr35
; %bb.328:                              ;   in Loop: Header=BB4_49 Depth=1
	s_andn2_saveexec_b64 s[72:73], s[72:73]
; %bb.329:                              ;   in Loop: Header=BB4_49 Depth=1
	v_or_b32_e32 v20, 0x10000, v35
	v_cmp_eq_u32_sdwa vcc, v35, v10 src0_sel:WORD_0 src1_sel:DWORD
	v_cndmask_b32_e32 v20, v20, v35, vcc
; %bb.330:                              ;   in Loop: Header=BB4_49 Depth=1
	s_or_b64 exec, exec, s[72:73]
	v_and_b32_e32 v30, 0xffff0000, v30
	v_and_b32_e32 v34, 0xffff0000, v34
	v_add_f32_e32 v34, v30, v34
	v_and_b32_e32 v30, 0x7f800000, v34
	v_cmp_ne_u32_e32 vcc, s48, v30
                                        ; implicit-def: $vgpr30
	s_and_saveexec_b64 s[72:73], vcc
	s_xor_b64 s[72:73], exec, s[72:73]
; %bb.331:                              ;   in Loop: Header=BB4_49 Depth=1
	v_bfe_u32 v30, v34, 16, 1
	v_add3_u32 v30, v34, v30, s49
                                        ; implicit-def: $vgpr34
; %bb.332:                              ;   in Loop: Header=BB4_49 Depth=1
	s_andn2_saveexec_b64 s[72:73], s[72:73]
; %bb.333:                              ;   in Loop: Header=BB4_49 Depth=1
	v_or_b32_e32 v30, 0x10000, v34
	v_cmp_eq_u32_sdwa vcc, v34, v10 src0_sel:WORD_0 src1_sel:DWORD
	v_cndmask_b32_e32 v30, v30, v34, vcc
; %bb.334:                              ;   in Loop: Header=BB4_49 Depth=1
	s_or_b64 exec, exec, s[72:73]
	v_lshlrev_b32_e32 v34, 16, v25
	s_waitcnt vmcnt(2)
	v_lshlrev_b32_e32 v35, 16, v29
	v_add_f32_e32 v35, v34, v35
	v_and_b32_e32 v34, 0x7f800000, v35
	v_cmp_ne_u32_e32 vcc, s48, v34
                                        ; implicit-def: $vgpr34
	s_and_saveexec_b64 s[72:73], vcc
	s_xor_b64 s[72:73], exec, s[72:73]
; %bb.335:                              ;   in Loop: Header=BB4_49 Depth=1
	v_bfe_u32 v34, v35, 16, 1
	v_add3_u32 v34, v35, v34, s49
                                        ; implicit-def: $vgpr35
; %bb.336:                              ;   in Loop: Header=BB4_49 Depth=1
	s_andn2_saveexec_b64 s[72:73], s[72:73]
; %bb.337:                              ;   in Loop: Header=BB4_49 Depth=1
	v_or_b32_e32 v34, 0x10000, v35
	v_cmp_eq_u32_sdwa vcc, v35, v10 src0_sel:WORD_0 src1_sel:DWORD
	v_cndmask_b32_e32 v34, v34, v35, vcc
; %bb.338:                              ;   in Loop: Header=BB4_49 Depth=1
	s_or_b64 exec, exec, s[72:73]
	v_and_b32_e32 v25, 0xffff0000, v25
	v_and_b32_e32 v29, 0xffff0000, v29
	v_add_f32_e32 v29, v25, v29
	v_and_b32_e32 v25, 0x7f800000, v29
	v_cmp_ne_u32_e32 vcc, s48, v25
                                        ; implicit-def: $vgpr25
	s_and_saveexec_b64 s[72:73], vcc
	s_xor_b64 s[72:73], exec, s[72:73]
; %bb.339:                              ;   in Loop: Header=BB4_49 Depth=1
	v_bfe_u32 v25, v29, 16, 1
	v_add3_u32 v25, v29, v25, s49
                                        ; implicit-def: $vgpr29
; %bb.340:                              ;   in Loop: Header=BB4_49 Depth=1
	s_andn2_saveexec_b64 s[72:73], s[72:73]
; %bb.341:                              ;   in Loop: Header=BB4_49 Depth=1
	v_or_b32_e32 v25, 0x10000, v29
	v_cmp_eq_u32_sdwa vcc, v29, v10 src0_sel:WORD_0 src1_sel:DWORD
	v_cndmask_b32_e32 v25, v25, v29, vcc
; %bb.342:                              ;   in Loop: Header=BB4_49 Depth=1
	s_or_b64 exec, exec, s[72:73]
	s_waitcnt vmcnt(0)
	v_lshlrev_b32_e32 v29, 16, v2
	v_lshlrev_b32_e32 v35, 16, v1
	v_add_f32_e32 v35, v29, v35
	v_and_b32_e32 v29, 0x7f800000, v35
	v_cmp_ne_u32_e32 vcc, s48, v29
                                        ; implicit-def: $vgpr29
	s_and_saveexec_b64 s[72:73], vcc
	s_xor_b64 s[72:73], exec, s[72:73]
; %bb.343:                              ;   in Loop: Header=BB4_49 Depth=1
	v_bfe_u32 v29, v35, 16, 1
	v_add3_u32 v29, v35, v29, s49
                                        ; implicit-def: $vgpr35
; %bb.344:                              ;   in Loop: Header=BB4_49 Depth=1
	s_andn2_saveexec_b64 s[72:73], s[72:73]
; %bb.345:                              ;   in Loop: Header=BB4_49 Depth=1
	v_or_b32_e32 v29, 0x10000, v35
	v_cmp_eq_u32_sdwa vcc, v35, v10 src0_sel:WORD_0 src1_sel:DWORD
	v_cndmask_b32_e32 v29, v29, v35, vcc
; %bb.346:                              ;   in Loop: Header=BB4_49 Depth=1
	s_or_b64 exec, exec, s[72:73]
	v_and_b32_e32 v2, 0xffff0000, v2
	v_and_b32_e32 v1, 0xffff0000, v1
	v_add_f32_e32 v2, v2, v1
	v_and_b32_e32 v1, 0x7f800000, v2
	v_cmp_ne_u32_e32 vcc, s48, v1
                                        ; implicit-def: $vgpr1
	s_and_saveexec_b64 s[72:73], vcc
	s_xor_b64 s[72:73], exec, s[72:73]
; %bb.347:                              ;   in Loop: Header=BB4_49 Depth=1
	v_bfe_u32 v1, v2, 16, 1
	v_add3_u32 v1, v2, v1, s49
                                        ; implicit-def: $vgpr2
; %bb.348:                              ;   in Loop: Header=BB4_49 Depth=1
	s_andn2_saveexec_b64 s[72:73], s[72:73]
; %bb.349:                              ;   in Loop: Header=BB4_49 Depth=1
	v_or_b32_e32 v1, 0x10000, v2
	v_cmp_eq_u32_sdwa vcc, v2, v10 src0_sel:WORD_0 src1_sel:DWORD
	v_cndmask_b32_e32 v1, v1, v2, vcc
; %bb.350:                              ;   in Loop: Header=BB4_49 Depth=1
	s_or_b64 exec, exec, s[72:73]
	v_lshrrev_b32_e32 v0, 16, v0
	v_and_or_b32 v50, v19, s50, v0
	v_lshrrev_b32_e32 v0, 16, v34
	v_lshrrev_b32_e32 v2, 16, v20
	v_and_or_b32 v52, v25, s50, v0
	v_lshrrev_b32_e32 v0, 16, v29
	v_and_or_b32 v51, v30, s50, v2
	v_and_or_b32 v53, v1, s50, v0
	global_store_dwordx4 v[21:22], v[50:53], off glc slc
.LBB4_351:                              ;   in Loop: Header=BB4_49 Depth=1
	s_or_b64 exec, exec, s[22:23]
	v_and_b32_e32 v2, 14, v3
	v_cndmask_b32_e64 v1, v26, v2, s[20:21]
	v_cmp_ne_u32_e32 vcc, 0, v1
	s_mov_b64 s[72:73], s[60:61]
                                        ; implicit-def: $vgpr30
                                        ; implicit-def: $vgpr0
                                        ; implicit-def: $vgpr34
	s_and_saveexec_b64 s[22:23], vcc
	s_cbranch_execz .LBB4_353
; %bb.352:                              ;   in Loop: Header=BB4_49 Depth=1
	v_sub_u32_e32 v0, v26, v2
	v_cndmask_b32_e64 v0, 0, v0, s[20:21]
	v_cmp_lt_i32_e32 vcc, 0, v27
	v_add3_u32 v30, v24, v11, v0
	v_cndmask_b32_e32 v0, 0, v28, vcc
	v_sub_u32_e32 v0, v0, v27
	v_lshl_add_u32 v0, v0, 6, v23
	v_ashrrev_i32_e32 v2, 31, v0
	v_lshrrev_b32_e32 v2, 26, v2
	v_add_u32_e32 v2, v0, v2
	v_and_b32_e32 v2, 0xffffffc0, v2
	v_sub_u32_e32 v34, v0, v2
	s_or_b64 s[72:73], s[60:61], exec
.LBB4_353:                              ;   in Loop: Header=BB4_49 Depth=1
	s_or_b64 exec, exec, s[22:23]
	s_andn2_b64 s[20:21], s[60:61], exec
	s_and_b64 s[22:23], s[72:73], exec
	s_or_b64 s[60:61], s[20:21], s[22:23]
.LBB4_354:                              ;   in Loop: Header=BB4_49 Depth=1
	s_or_b64 exec, exec, s[62:63]
	s_and_saveexec_b64 s[22:23], s[60:61]
	s_cbranch_execz .LBB4_438
.LBB4_355:                              ;   in Loop: Header=BB4_49 Depth=1
	s_waitcnt vmcnt(0)
	v_ashrrev_i32_e32 v2, 31, v0
	v_lshrrev_b32_e32 v2, 26, v2
	v_add_u32_e32 v0, v0, v2
	v_ashrrev_i32_e32 v0, 6, v0
	v_lshlrev_b32_e32 v2, 9, v0
	s_waitcnt vmcnt(0)
	v_lshlrev_b32_e32 v3, 1, v34
	v_add3_u32 v25, v30, v3, v2
	v_ashrrev_i32_e32 v2, 31, v1
	v_lshrrev_b32_e32 v2, 23, v2
	v_add_u32_e32 v2, v1, v2
	v_ashrrev_i32_e32 v3, 9, v2
	v_ashrrev_i32_e32 v27, 31, v25
	s_waitcnt lgkmcnt(0)
	v_add_co_u32_e32 v19, vcc, v17, v25
	v_sub_u32_e32 v11, v3, v0
	v_addc_co_u32_e32 v20, vcc, v18, v27, vcc
	v_cmp_lt_i32_e32 vcc, 0, v11
	v_mov_b32_e32 v21, 0
	s_mov_b64 s[60:61], 0
	v_mov_b32_e32 v24, 0
	v_mov_b32_e32 v22, 0
	;; [unrolled: 1-line block ×7, first 2 shown]
	s_and_saveexec_b64 s[20:21], vcc
	s_cbranch_execz .LBB4_395
; %bb.356:                              ;   in Loop: Header=BB4_49 Depth=1
	s_trap 2
	ds_read_b64 v[23:24], v0
	v_add_co_u32_e32 v21, vcc, v25, v15
	v_addc_co_u32_e32 v22, vcc, v27, v16, vcc
	s_waitcnt lgkmcnt(0)
	v_add_co_u32_e32 v23, vcc, v23, v25
	v_addc_co_u32_e32 v24, vcc, v24, v27, vcc
	s_mov_b64 s[72:73], 0
	s_mov_b64 s[62:63], 0
                                        ; implicit-def: $sgpr60_sgpr61
                                        ; implicit-def: $vgpr53
                                        ; implicit-def: $vgpr52
                                        ; implicit-def: $vgpr25
                                        ; implicit-def: $vgpr51
                                        ; implicit-def: $vgpr26
                                        ; implicit-def: $vgpr27
                                        ; implicit-def: $vgpr35
                                        ; implicit-def: $vgpr50
	s_branch .LBB4_358
.LBB4_357:                              ;   in Loop: Header=BB4_358 Depth=2
	s_or_b64 exec, exec, s[74:75]
	flat_store_short_d16_hi v[19:20], v41 glc slc
	flat_store_short_d16_hi v[19:20], v0 offset:128 glc slc
	flat_store_short_d16_hi v[19:20], v2 offset:256 glc slc
	;; [unrolled: 1-line block ×3, first 2 shown]
	v_add_co_u32_e32 v0, vcc, v21, v43
	v_addc_co_u32_e32 v2, vcc, v22, v44, vcc
	v_add_co_u32_e32 v29, vcc, v23, v43
	v_mov_b32_e32 v47, 0x200
	v_addc_co_u32_e32 v41, vcc, v24, v44, vcc
	v_cndmask_b32_e64 v47, v47, v45, s[72:73]
	v_cndmask_b32_e64 v42, 0, v46, s[72:73]
	v_add_co_u32_e32 v19, vcc, v19, v47
	v_cndmask_b32_e64 v21, v21, v0, s[72:73]
	v_cndmask_b32_e64 v0, 0, v28, s[72:73]
	v_addc_co_u32_e32 v20, vcc, v20, v42, vcc
	v_sub_u32_e32 v11, v11, v0
	v_cmp_gt_i32_e32 vcc, 1, v11
	s_or_b64 s[62:63], vcc, s[62:63]
	s_andn2_b64 s[60:61], s[60:61], exec
	s_and_b64 s[74:75], s[72:73], exec
	v_cndmask_b32_e64 v22, v22, v2, s[72:73]
	v_cndmask_b32_e64 v24, v24, v41, s[72:73]
	;; [unrolled: 1-line block ×3, first 2 shown]
	s_or_b64 s[60:61], s[60:61], s[74:75]
	s_andn2_b64 exec, exec, s[62:63]
	s_cbranch_execz .LBB4_394
.LBB4_358:                              ;   Parent Loop BB4_49 Depth=1
                                        ; =>  This Inner Loop Header: Depth=2
	flat_load_ushort v41, v[21:22] glc slc
	flat_load_ushort v2, v[21:22] offset:128 glc slc
	flat_load_ushort v60, v[21:22] offset:256 glc slc
	;; [unrolled: 1-line block ×3, first 2 shown]
	flat_load_ushort v42, v[23:24] glc slc
	flat_load_ushort v0, v[23:24] offset:128 glc slc
	flat_load_ushort v47, v[23:24] offset:256 glc slc
	flat_load_ushort v61, v[23:24] offset:384 glc slc
	s_and_saveexec_b64 s[74:75], s[72:73]
	s_cbranch_execz .LBB4_376
; %bb.359:                              ;   in Loop: Header=BB4_358 Depth=2
	v_lshlrev_b32_e32 v53, 16, v53
	v_lshlrev_b32_e32 v58, 16, v26
	v_add_f32_e32 v58, v53, v58
	v_and_b32_e32 v53, 0x7f800000, v58
	v_cmp_ne_u32_e32 vcc, s48, v53
                                        ; implicit-def: $vgpr53
	s_and_saveexec_b64 s[72:73], vcc
	s_xor_b64 s[72:73], exec, s[72:73]
; %bb.360:                              ;   in Loop: Header=BB4_358 Depth=2
	v_bfe_u32 v53, v58, 16, 1
	v_add3_u32 v53, v58, v53, s49
                                        ; implicit-def: $vgpr58
; %bb.361:                              ;   in Loop: Header=BB4_358 Depth=2
	s_andn2_saveexec_b64 s[72:73], s[72:73]
; %bb.362:                              ;   in Loop: Header=BB4_358 Depth=2
	v_or_b32_e32 v53, 0x10000, v58
	v_cmp_eq_u32_sdwa vcc, v58, v10 src0_sel:WORD_0 src1_sel:DWORD
	v_cndmask_b32_e32 v53, v53, v58, vcc
; %bb.363:                              ;   in Loop: Header=BB4_358 Depth=2
	s_or_b64 exec, exec, s[72:73]
	v_lshlrev_b32_e32 v52, 16, v52
	v_lshlrev_b32_e32 v58, 16, v27
	v_add_f32_e32 v58, v52, v58
	v_and_b32_e32 v52, 0x7f800000, v58
	v_cmp_ne_u32_e32 vcc, s48, v52
                                        ; implicit-def: $vgpr52
	s_and_saveexec_b64 s[72:73], vcc
	s_xor_b64 s[72:73], exec, s[72:73]
; %bb.364:                              ;   in Loop: Header=BB4_358 Depth=2
	v_bfe_u32 v52, v58, 16, 1
	v_add3_u32 v52, v58, v52, s49
                                        ; implicit-def: $vgpr58
; %bb.365:                              ;   in Loop: Header=BB4_358 Depth=2
	s_andn2_saveexec_b64 s[72:73], s[72:73]
; %bb.366:                              ;   in Loop: Header=BB4_358 Depth=2
	v_or_b32_e32 v52, 0x10000, v58
	v_cmp_eq_u32_sdwa vcc, v58, v10 src0_sel:WORD_0 src1_sel:DWORD
	v_cndmask_b32_e32 v52, v52, v58, vcc
; %bb.367:                              ;   in Loop: Header=BB4_358 Depth=2
	s_or_b64 exec, exec, s[72:73]
	v_lshlrev_b32_e32 v25, 16, v25
	v_lshlrev_b32_e32 v58, 16, v35
	v_add_f32_e32 v58, v25, v58
	v_and_b32_e32 v25, 0x7f800000, v58
	v_cmp_ne_u32_e32 vcc, s48, v25
                                        ; implicit-def: $vgpr25
	s_and_saveexec_b64 s[72:73], vcc
	s_xor_b64 s[72:73], exec, s[72:73]
; %bb.368:                              ;   in Loop: Header=BB4_358 Depth=2
	v_bfe_u32 v25, v58, 16, 1
	v_add3_u32 v25, v58, v25, s49
                                        ; implicit-def: $vgpr58
; %bb.369:                              ;   in Loop: Header=BB4_358 Depth=2
	s_andn2_saveexec_b64 s[72:73], s[72:73]
; %bb.370:                              ;   in Loop: Header=BB4_358 Depth=2
	v_or_b32_e32 v25, 0x10000, v58
	v_cmp_eq_u32_sdwa vcc, v58, v10 src0_sel:WORD_0 src1_sel:DWORD
	v_cndmask_b32_e32 v25, v25, v58, vcc
; %bb.371:                              ;   in Loop: Header=BB4_358 Depth=2
	s_or_b64 exec, exec, s[72:73]
	v_lshlrev_b32_e32 v51, 16, v51
	v_lshlrev_b32_e32 v58, 16, v50
	v_add_f32_e32 v58, v51, v58
	v_and_b32_e32 v51, 0x7f800000, v58
	v_cmp_ne_u32_e32 vcc, s48, v51
                                        ; implicit-def: $vgpr51
	s_and_saveexec_b64 s[72:73], vcc
	s_xor_b64 s[72:73], exec, s[72:73]
; %bb.372:                              ;   in Loop: Header=BB4_358 Depth=2
	v_bfe_u32 v51, v58, 16, 1
	v_add3_u32 v51, v58, v51, s49
                                        ; implicit-def: $vgpr58
; %bb.373:                              ;   in Loop: Header=BB4_358 Depth=2
	s_andn2_saveexec_b64 s[72:73], s[72:73]
; %bb.374:                              ;   in Loop: Header=BB4_358 Depth=2
	v_or_b32_e32 v51, 0x10000, v58
	v_cmp_eq_u32_sdwa vcc, v58, v10 src0_sel:WORD_0 src1_sel:DWORD
	v_cndmask_b32_e32 v51, v51, v58, vcc
; %bb.375:                              ;   in Loop: Header=BB4_358 Depth=2
	s_or_b64 exec, exec, s[72:73]
	v_lshrrev_b32_e32 v53, 16, v53
	v_lshrrev_b32_e32 v25, 16, v25
	;; [unrolled: 1-line block ×4, first 2 shown]
	flat_store_short v[19:20], v53 glc slc
	flat_store_short v[19:20], v52 offset:128 glc slc
	flat_store_short v[19:20], v25 offset:256 glc slc
	;; [unrolled: 1-line block ×3, first 2 shown]
	v_add_co_u32_e32 v19, vcc, v19, v45
	v_addc_co_u32_e32 v20, vcc, v20, v46, vcc
.LBB4_376:                              ;   in Loop: Header=BB4_358 Depth=2
	s_or_b64 exec, exec, s[74:75]
	v_add_co_u32_e32 v21, vcc, v21, v45
	v_addc_co_u32_e32 v22, vcc, v22, v46, vcc
	v_add_co_u32_e32 v23, vcc, v23, v45
	v_sub_u32_e32 v11, v11, v28
	v_addc_co_u32_e32 v24, vcc, v24, v46, vcc
	v_cmp_lt_i32_e64 s[72:73], 0, v11
	s_and_saveexec_b64 s[74:75], s[72:73]
	s_cbranch_execz .LBB4_378
; %bb.377:                              ;   in Loop: Header=BB4_358 Depth=2
	flat_load_ushort v53, v[21:22] glc slc
	flat_load_ushort v52, v[21:22] offset:128 glc slc
	flat_load_ushort v25, v[21:22] offset:256 glc slc
	;; [unrolled: 1-line block ×3, first 2 shown]
	flat_load_ushort v26, v[23:24] glc slc
	flat_load_ushort v27, v[23:24] offset:128 glc slc
	flat_load_ushort v35, v[23:24] offset:256 glc slc
	;; [unrolled: 1-line block ×3, first 2 shown]
	v_add_co_u32_e32 v21, vcc, 0x200, v21
	v_addc_co_u32_e32 v22, vcc, 0, v22, vcc
	v_add_co_u32_e32 v23, vcc, 0x200, v23
	v_addc_co_u32_e32 v24, vcc, 0, v24, vcc
.LBB4_378:                              ;   in Loop: Header=BB4_358 Depth=2
	s_or_b64 exec, exec, s[74:75]
	s_waitcnt vmcnt(0) lgkmcnt(0)
	v_lshlrev_b32_e32 v41, 16, v41
	v_lshlrev_b32_e32 v42, 16, v42
	v_add_f32_e32 v42, v41, v42
	v_and_b32_e32 v41, 0x7f800000, v42
	v_cmp_ne_u32_e32 vcc, s48, v41
                                        ; implicit-def: $vgpr41
	s_and_saveexec_b64 s[74:75], vcc
	s_xor_b64 s[74:75], exec, s[74:75]
; %bb.379:                              ;   in Loop: Header=BB4_358 Depth=2
	v_bfe_u32 v41, v42, 16, 1
	v_add3_u32 v41, v42, v41, s49
                                        ; implicit-def: $vgpr42
; %bb.380:                              ;   in Loop: Header=BB4_358 Depth=2
	s_andn2_saveexec_b64 s[74:75], s[74:75]
; %bb.381:                              ;   in Loop: Header=BB4_358 Depth=2
	v_or_b32_e32 v41, 0x10000, v42
	v_cmp_eq_u32_sdwa vcc, v42, v10 src0_sel:WORD_0 src1_sel:DWORD
	v_cndmask_b32_e32 v41, v41, v42, vcc
; %bb.382:                              ;   in Loop: Header=BB4_358 Depth=2
	s_or_b64 exec, exec, s[74:75]
	v_lshlrev_b32_e32 v2, 16, v2
	v_lshlrev_b32_e32 v0, 16, v0
	v_add_f32_e32 v2, v2, v0
	v_and_b32_e32 v0, 0x7f800000, v2
	v_cmp_ne_u32_e32 vcc, s48, v0
                                        ; implicit-def: $vgpr0
	s_and_saveexec_b64 s[74:75], vcc
	s_xor_b64 s[74:75], exec, s[74:75]
; %bb.383:                              ;   in Loop: Header=BB4_358 Depth=2
	v_bfe_u32 v0, v2, 16, 1
	v_add3_u32 v0, v2, v0, s49
                                        ; implicit-def: $vgpr2
; %bb.384:                              ;   in Loop: Header=BB4_358 Depth=2
	s_andn2_saveexec_b64 s[74:75], s[74:75]
; %bb.385:                              ;   in Loop: Header=BB4_358 Depth=2
	v_or_b32_e32 v0, 0x10000, v2
	v_cmp_eq_u32_sdwa vcc, v2, v10 src0_sel:WORD_0 src1_sel:DWORD
	v_cndmask_b32_e32 v0, v0, v2, vcc
; %bb.386:                              ;   in Loop: Header=BB4_358 Depth=2
	s_or_b64 exec, exec, s[74:75]
	v_lshlrev_b32_e32 v2, 16, v60
	v_lshlrev_b32_e32 v42, 16, v47
	v_add_f32_e32 v42, v2, v42
	v_and_b32_e32 v2, 0x7f800000, v42
	v_cmp_ne_u32_e32 vcc, s48, v2
                                        ; implicit-def: $vgpr2
	s_and_saveexec_b64 s[74:75], vcc
	s_xor_b64 s[74:75], exec, s[74:75]
; %bb.387:                              ;   in Loop: Header=BB4_358 Depth=2
	v_bfe_u32 v2, v42, 16, 1
	v_add3_u32 v2, v42, v2, s49
                                        ; implicit-def: $vgpr42
; %bb.388:                              ;   in Loop: Header=BB4_358 Depth=2
	s_andn2_saveexec_b64 s[74:75], s[74:75]
; %bb.389:                              ;   in Loop: Header=BB4_358 Depth=2
	v_or_b32_e32 v2, 0x10000, v42
	v_cmp_eq_u32_sdwa vcc, v42, v10 src0_sel:WORD_0 src1_sel:DWORD
	v_cndmask_b32_e32 v2, v2, v42, vcc
; %bb.390:                              ;   in Loop: Header=BB4_358 Depth=2
	s_or_b64 exec, exec, s[74:75]
	v_lshlrev_b32_e32 v29, 16, v29
	v_lshlrev_b32_e32 v42, 16, v61
	v_add_f32_e32 v42, v29, v42
	v_and_b32_e32 v29, 0x7f800000, v42
	v_cmp_ne_u32_e32 vcc, s48, v29
                                        ; implicit-def: $vgpr29
	s_and_saveexec_b64 s[74:75], vcc
	s_xor_b64 s[74:75], exec, s[74:75]
; %bb.391:                              ;   in Loop: Header=BB4_358 Depth=2
	v_bfe_u32 v29, v42, 16, 1
	v_add3_u32 v29, v42, v29, s49
                                        ; implicit-def: $vgpr42
; %bb.392:                              ;   in Loop: Header=BB4_358 Depth=2
	s_andn2_saveexec_b64 s[74:75], s[74:75]
	s_cbranch_execz .LBB4_357
; %bb.393:                              ;   in Loop: Header=BB4_358 Depth=2
	v_or_b32_e32 v29, 0x10000, v42
	v_cmp_eq_u32_sdwa vcc, v42, v10 src0_sel:WORD_0 src1_sel:DWORD
	v_cndmask_b32_e32 v29, v29, v42, vcc
	s_branch .LBB4_357
.LBB4_394:                              ;   in Loop: Header=BB4_49 Depth=1
	s_or_b64 exec, exec, s[62:63]
	v_lshlrev_b32_e32 v21, 16, v53
	v_lshlrev_b32_e32 v29, 16, v26
	;; [unrolled: 1-line block ×8, first 2 shown]
	s_and_b64 s[60:61], s[60:61], exec
.LBB4_395:                              ;   in Loop: Header=BB4_49 Depth=1
	s_or_b64 exec, exec, s[20:21]
	s_and_saveexec_b64 s[20:21], s[60:61]
	s_cbranch_execz .LBB4_413
; %bb.396:                              ;   in Loop: Header=BB4_49 Depth=1
	v_add_f32_e32 v25, v29, v21
	v_and_b32_e32 v21, 0x7f800000, v25
	v_cmp_ne_u32_e32 vcc, s48, v21
                                        ; implicit-def: $vgpr21
	s_and_saveexec_b64 s[60:61], vcc
	s_xor_b64 s[60:61], exec, s[60:61]
; %bb.397:                              ;   in Loop: Header=BB4_49 Depth=1
	v_bfe_u32 v21, v25, 16, 1
	v_add3_u32 v21, v25, v21, s49
                                        ; implicit-def: $vgpr25
; %bb.398:                              ;   in Loop: Header=BB4_49 Depth=1
	s_andn2_saveexec_b64 s[60:61], s[60:61]
; %bb.399:                              ;   in Loop: Header=BB4_49 Depth=1
	v_or_b32_e32 v21, 0x10000, v25
	v_cmp_eq_u32_sdwa vcc, v25, v10 src0_sel:WORD_0 src1_sel:DWORD
	v_cndmask_b32_e32 v21, v21, v25, vcc
; %bb.400:                              ;   in Loop: Header=BB4_49 Depth=1
	s_or_b64 exec, exec, s[60:61]
	v_add_f32_e32 v25, v26, v24
	v_and_b32_e32 v24, 0x7f800000, v25
	v_cmp_ne_u32_e32 vcc, s48, v24
                                        ; implicit-def: $vgpr24
	s_and_saveexec_b64 s[60:61], vcc
	s_xor_b64 s[60:61], exec, s[60:61]
; %bb.401:                              ;   in Loop: Header=BB4_49 Depth=1
	v_bfe_u32 v24, v25, 16, 1
	v_add3_u32 v24, v25, v24, s49
                                        ; implicit-def: $vgpr25
; %bb.402:                              ;   in Loop: Header=BB4_49 Depth=1
	s_andn2_saveexec_b64 s[60:61], s[60:61]
; %bb.403:                              ;   in Loop: Header=BB4_49 Depth=1
	v_or_b32_e32 v24, 0x10000, v25
	v_cmp_eq_u32_sdwa vcc, v25, v10 src0_sel:WORD_0 src1_sel:DWORD
	v_cndmask_b32_e32 v24, v24, v25, vcc
; %bb.404:                              ;   in Loop: Header=BB4_49 Depth=1
	s_or_b64 exec, exec, s[60:61]
	v_add_f32_e32 v23, v23, v22
	v_and_b32_e32 v22, 0x7f800000, v23
	v_cmp_ne_u32_e32 vcc, s48, v22
                                        ; implicit-def: $vgpr22
	s_and_saveexec_b64 s[60:61], vcc
	s_xor_b64 s[60:61], exec, s[60:61]
; %bb.405:                              ;   in Loop: Header=BB4_49 Depth=1
	v_bfe_u32 v22, v23, 16, 1
	v_add3_u32 v22, v23, v22, s49
                                        ; implicit-def: $vgpr23
; %bb.406:                              ;   in Loop: Header=BB4_49 Depth=1
	s_andn2_saveexec_b64 s[60:61], s[60:61]
; %bb.407:                              ;   in Loop: Header=BB4_49 Depth=1
	v_or_b32_e32 v22, 0x10000, v23
	v_cmp_eq_u32_sdwa vcc, v23, v10 src0_sel:WORD_0 src1_sel:DWORD
	v_cndmask_b32_e32 v22, v22, v23, vcc
; %bb.408:                              ;   in Loop: Header=BB4_49 Depth=1
	s_or_b64 exec, exec, s[60:61]
	v_add_f32_e32 v2, v2, v0
	v_and_b32_e32 v0, 0x7f800000, v2
	v_cmp_ne_u32_e32 vcc, s48, v0
                                        ; implicit-def: $vgpr0
	s_and_saveexec_b64 s[60:61], vcc
	s_xor_b64 s[60:61], exec, s[60:61]
; %bb.409:                              ;   in Loop: Header=BB4_49 Depth=1
	v_bfe_u32 v0, v2, 16, 1
	v_add3_u32 v0, v2, v0, s49
                                        ; implicit-def: $vgpr2
; %bb.410:                              ;   in Loop: Header=BB4_49 Depth=1
	s_andn2_saveexec_b64 s[60:61], s[60:61]
; %bb.411:                              ;   in Loop: Header=BB4_49 Depth=1
	v_or_b32_e32 v0, 0x10000, v2
	v_cmp_eq_u32_sdwa vcc, v2, v10 src0_sel:WORD_0 src1_sel:DWORD
	v_cndmask_b32_e32 v0, v0, v2, vcc
; %bb.412:                              ;   in Loop: Header=BB4_49 Depth=1
	s_or_b64 exec, exec, s[60:61]
	flat_store_short_d16_hi v[19:20], v21 glc slc
	flat_store_short_d16_hi v[19:20], v24 offset:128 glc slc
	flat_store_short_d16_hi v[19:20], v22 offset:256 glc slc
	;; [unrolled: 1-line block ×3, first 2 shown]
.LBB4_413:                              ;   in Loop: Header=BB4_49 Depth=1
	s_or_b64 exec, exec, s[20:21]
	v_lshlrev_b32_e32 v0, 9, v3
	v_cmp_ne_u32_e32 vcc, v1, v0
	s_and_b64 s[20:21], exec, vcc
	v_lshlrev_b32_e32 v23, 7, v28
	s_mov_b64 exec, s[20:21]
	s_cbranch_execz .LBB4_438
; %bb.414:                              ;   in Loop: Header=BB4_49 Depth=1
	v_lshlrev_b32_e32 v2, 6, v11
	v_sub_u32_e32 v2, v34, v2
	v_ashrrev_i32_e32 v3, 31, v2
	v_lshrrev_b32_e32 v3, 26, v3
	v_add_u32_e32 v3, v2, v3
	v_and_b32_e32 v11, 0x7fffffc0, v3
	v_sub_u32_e32 v2, v2, v11
	v_lshlrev_b32_e32 v3, 1, v3
	v_and_b32_e32 v3, 0xffffff80, v3
	v_lshlrev_b32_e32 v2, 1, v2
	v_add3_u32 v2, v3, v2, v0
	v_sub_u32_e32 v0, v1, v2
	v_cmp_lt_i32_e32 vcc, 1, v0
	s_and_b64 exec, exec, vcc
	s_cbranch_execz .LBB4_438
; %bb.415:                              ;   in Loop: Header=BB4_49 Depth=1
	s_trap 2
	ds_read_b64 v[19:20], v0
	buffer_load_dword v24, off, s[0:3], s33 offset:240 ; 4-byte Folded Reload
	buffer_load_dword v25, off, s[0:3], s33 offset:244 ; 4-byte Folded Reload
	v_add_u32_e32 v1, v2, v30
	v_ashrrev_i32_e32 v21, 31, v1
	v_add_co_u32_e32 v17, vcc, v17, v1
	v_addc_co_u32_e32 v18, vcc, v18, v21, vcc
	v_add_co_u32_e32 v11, vcc, v1, v15
	v_addc_co_u32_e32 v3, vcc, v21, v16, vcc
	s_waitcnt lgkmcnt(0)
	v_add_co_u32_e32 v2, vcc, v19, v1
	v_addc_co_u32_e32 v1, vcc, v20, v21, vcc
	s_mov_b64 s[72:73], 0
	s_mov_b64 s[60:61], 0
                                        ; implicit-def: $sgpr62_sgpr63
	s_branch .LBB4_417
.LBB4_416:                              ;   in Loop: Header=BB4_417 Depth=2
	s_or_b64 exec, exec, s[20:21]
	v_lshrrev_b32_e32 v15, 16, v16
	buffer_store_short v15, off, s[0:3], s33 offset:64
	flat_store_short v[17:18], v15 glc slc
	v_add_co_u32_e32 v15, vcc, v11, v56
	v_addc_co_u32_e32 v16, vcc, v3, v57, vcc
	v_add_co_u32_e32 v19, vcc, v2, v56
	v_mov_b32_e32 v22, 0x80
	v_addc_co_u32_e32 v20, vcc, v1, v57, vcc
	v_cndmask_b32_e64 v22, v22, v24, s[72:73]
	v_cndmask_b32_e64 v21, 0, v25, s[72:73]
	v_add_co_u32_e32 v17, vcc, v17, v22
	v_cndmask_b32_e64 v11, v11, v15, s[72:73]
	v_cndmask_b32_e64 v15, 0, v23, s[72:73]
	v_addc_co_u32_e32 v18, vcc, v18, v21, vcc
	v_sub_u32_e32 v0, v0, v15
	v_cmp_gt_i32_e32 vcc, 2, v0
	s_or_b64 s[60:61], vcc, s[60:61]
	s_andn2_b64 s[20:21], s[62:63], exec
	s_and_b64 s[62:63], s[72:73], exec
	v_cndmask_b32_e64 v1, v1, v20, s[72:73]
	v_cndmask_b32_e64 v2, v2, v19, s[72:73]
	v_cndmask_b32_e64 v3, v3, v16, s[72:73]
	s_or_b64 s[62:63], s[20:21], s[62:63]
	s_andn2_b64 exec, exec, s[60:61]
	s_cbranch_execz .LBB4_432
.LBB4_417:                              ;   Parent Loop BB4_49 Depth=1
                                        ; =>  This Loop Header: Depth=2
                                        ;       Child Loop BB4_418 Depth 3
                                        ;       Child Loop BB4_427 Depth 3
	s_lshr_b32 s78, s33, 6
	s_add_i32 s78, s78, 64
	s_mov_b64 s[74:75], -1
	s_mov_b64 s[76:77], 0
.LBB4_418:                              ;   Parent Loop BB4_49 Depth=1
                                        ;     Parent Loop BB4_417 Depth=2
                                        ; =>    This Inner Loop Header: Depth=3
	s_cmp_eq_u32 s76, 1
	s_cselect_b64 s[20:21], -1, 0
	v_cndmask_b32_e64 v16, v3, v1, s[20:21]
	v_cndmask_b32_e64 v15, v11, v2, s[20:21]
	flat_load_ushort v19, v[15:16] glc slc
	v_add_co_u32_e32 v15, vcc, 0x80, v15
	v_addc_co_u32_e32 v16, vcc, 0, v16, vcc
	s_cmp_eq_u32 s76, 0
	v_mov_b32_e32 v20, s78
	s_cselect_b64 vcc, -1, 0
	s_lshr_b32 s78, s33, 6
	s_addk_i32 s78, 0x60
	v_cndmask_b32_e64 v1, v1, v16, s[20:21]
	v_cndmask_b32_e64 v2, v2, v15, s[20:21]
	v_cndmask_b32_e32 v3, v3, v16, vcc
	v_cndmask_b32_e32 v11, v11, v15, vcc
	s_mov_b64 s[76:77], 1
	s_and_b64 vcc, exec, s[74:75]
	s_mov_b64 s[74:75], 0
	s_waitcnt vmcnt(0) lgkmcnt(0)
	buffer_store_short v19, v20, s[0:3], 0 offen
	s_cbranch_vccnz .LBB4_418
; %bb.419:                              ;   in Loop: Header=BB4_417 Depth=2
	s_and_saveexec_b64 s[20:21], s[72:73]
	s_cbranch_execz .LBB4_425
; %bb.420:                              ;   in Loop: Header=BB4_417 Depth=2
	buffer_load_ushort v15, off, s[0:3], s33 offset:62
	buffer_load_ushort v16, off, s[0:3], s33 offset:60
	s_waitcnt vmcnt(1)
	v_lshlrev_b32_e32 v15, 16, v15
	s_waitcnt vmcnt(0)
	v_lshlrev_b32_e32 v16, 16, v16
	v_add_f32_e32 v15, v16, v15
	v_and_b32_e32 v16, 0x7f800000, v15
	v_cmp_ne_u32_e32 vcc, s48, v16
                                        ; implicit-def: $vgpr16
	s_and_saveexec_b64 s[72:73], vcc
	s_xor_b64 s[72:73], exec, s[72:73]
; %bb.421:                              ;   in Loop: Header=BB4_417 Depth=2
	v_bfe_u32 v16, v15, 16, 1
	v_add3_u32 v16, v15, v16, s49
                                        ; implicit-def: $vgpr15
; %bb.422:                              ;   in Loop: Header=BB4_417 Depth=2
	s_andn2_saveexec_b64 s[72:73], s[72:73]
; %bb.423:                              ;   in Loop: Header=BB4_417 Depth=2
	v_or_b32_e32 v16, 0x10000, v15
	v_cmp_eq_u32_sdwa vcc, v15, v10 src0_sel:WORD_0 src1_sel:DWORD
	v_cndmask_b32_e32 v16, v16, v15, vcc
; %bb.424:                              ;   in Loop: Header=BB4_417 Depth=2
	s_or_b64 exec, exec, s[72:73]
	v_lshrrev_b32_e32 v15, 16, v16
	flat_store_short v[17:18], v15 glc slc
	v_add_co_u32_e32 v17, vcc, v17, v24
	v_addc_co_u32_e32 v18, vcc, v18, v25, vcc
	buffer_store_short v15, off, s[0:3], s33 offset:60
.LBB4_425:                              ;   in Loop: Header=BB4_417 Depth=2
	s_or_b64 exec, exec, s[20:21]
	v_add_co_u32_e32 v11, vcc, v11, v56
	v_addc_co_u32_e32 v3, vcc, v3, v57, vcc
	v_add_co_u32_e32 v2, vcc, v2, v56
	v_sub_u32_e32 v0, v0, v23
	v_addc_co_u32_e32 v1, vcc, v1, v57, vcc
	v_cmp_lt_i32_e64 s[72:73], 1, v0
	s_and_saveexec_b64 s[74:75], s[72:73]
	s_cbranch_execz .LBB4_428
; %bb.426:                              ;   in Loop: Header=BB4_417 Depth=2
	s_lshr_b32 s88, s33, 6
	s_add_i32 s88, s88, 60
	s_mov_b64 s[78:79], 0
	s_mov_b64 s[76:77], -1
.LBB4_427:                              ;   Parent Loop BB4_49 Depth=1
                                        ;     Parent Loop BB4_417 Depth=2
                                        ; =>    This Inner Loop Header: Depth=3
	s_cmp_eq_u32 s78, 1
	s_cselect_b64 s[20:21], -1, 0
	v_cndmask_b32_e64 v16, v3, v1, s[20:21]
	v_cndmask_b32_e64 v15, v11, v2, s[20:21]
	flat_load_ushort v19, v[15:16] glc slc
	v_add_co_u32_e32 v15, vcc, 0x80, v15
	v_addc_co_u32_e32 v16, vcc, 0, v16, vcc
	s_cmp_eq_u32 s78, 0
	v_mov_b32_e32 v20, s88
	s_cselect_b64 vcc, -1, 0
	s_lshr_b32 s88, s33, 6
	s_add_i32 s88, s88, 62
	v_cndmask_b32_e32 v3, v3, v16, vcc
	v_cndmask_b32_e32 v11, v11, v15, vcc
	v_cndmask_b32_e64 v1, v1, v16, s[20:21]
	v_cndmask_b32_e64 v2, v2, v15, s[20:21]
	s_mov_b64 s[78:79], 1
	s_and_b64 vcc, exec, s[76:77]
	s_mov_b64 s[76:77], 0
	s_waitcnt vmcnt(0) lgkmcnt(0)
	buffer_store_short v19, v20, s[0:3], 0 offen
	s_cbranch_vccnz .LBB4_427
.LBB4_428:                              ;   in Loop: Header=BB4_417 Depth=2
	s_or_b64 exec, exec, s[74:75]
	buffer_load_ushort v15, off, s[0:3], s33 offset:96
	buffer_load_ushort v16, off, s[0:3], s33 offset:64
	s_waitcnt vmcnt(0)
	v_lshlrev_b32_e32 v15, 16, v15
	v_lshlrev_b32_e32 v16, 16, v16
	v_add_f32_e32 v15, v16, v15
	v_and_b32_e32 v16, 0x7f800000, v15
	v_cmp_ne_u32_e32 vcc, s48, v16
                                        ; implicit-def: $vgpr16
	s_and_saveexec_b64 s[20:21], vcc
	s_xor_b64 s[20:21], exec, s[20:21]
; %bb.429:                              ;   in Loop: Header=BB4_417 Depth=2
	v_bfe_u32 v16, v15, 16, 1
	v_add3_u32 v16, v15, v16, s49
                                        ; implicit-def: $vgpr15
; %bb.430:                              ;   in Loop: Header=BB4_417 Depth=2
	s_andn2_saveexec_b64 s[20:21], s[20:21]
	s_cbranch_execz .LBB4_416
; %bb.431:                              ;   in Loop: Header=BB4_417 Depth=2
	v_or_b32_e32 v16, 0x10000, v15
	v_cmp_eq_u32_sdwa vcc, v15, v10 src0_sel:WORD_0 src1_sel:DWORD
	v_cndmask_b32_e32 v16, v16, v15, vcc
	s_branch .LBB4_416
.LBB4_432:                              ;   in Loop: Header=BB4_49 Depth=1
	s_or_b64 exec, exec, s[60:61]
	s_and_b64 exec, exec, s[62:63]
	s_cbranch_execz .LBB4_438
; %bb.433:                              ;   in Loop: Header=BB4_49 Depth=1
	buffer_load_ushort v0, off, s[0:3], s33 offset:62
	buffer_load_ushort v1, off, s[0:3], s33 offset:60
	s_waitcnt vmcnt(0)
	v_lshlrev_b32_e32 v0, 16, v0
	v_lshlrev_b32_e32 v1, 16, v1
	v_add_f32_e32 v0, v1, v0
	v_and_b32_e32 v1, 0x7f800000, v0
	v_cmp_ne_u32_e32 vcc, s48, v1
                                        ; implicit-def: $vgpr1
	s_and_saveexec_b64 s[20:21], vcc
	s_xor_b64 s[20:21], exec, s[20:21]
; %bb.434:                              ;   in Loop: Header=BB4_49 Depth=1
	v_bfe_u32 v1, v0, 16, 1
	v_add3_u32 v1, v0, v1, s49
                                        ; implicit-def: $vgpr0
; %bb.435:                              ;   in Loop: Header=BB4_49 Depth=1
	s_andn2_saveexec_b64 s[20:21], s[20:21]
; %bb.436:                              ;   in Loop: Header=BB4_49 Depth=1
	v_or_b32_e32 v1, 0x10000, v0
	v_cmp_eq_u32_sdwa vcc, v0, v10 src0_sel:WORD_0 src1_sel:DWORD
	v_cndmask_b32_e32 v1, v1, v0, vcc
; %bb.437:                              ;   in Loop: Header=BB4_49 Depth=1
	s_or_b64 exec, exec, s[20:21]
	flat_store_short_d16_hi v[17:18], v1 glc slc
.LBB4_438:                              ;   in Loop: Header=BB4_49 Depth=1
	s_or_b64 exec, exec, s[22:23]
	buffer_load_dword v0, off, s[0:3], s33 offset:180 ; 4-byte Folded Reload
	buffer_load_dword v24, off, s[0:3], s33 offset:188 ; 4-byte Folded Reload
	s_waitcnt lgkmcnt(0)
	v_mov_b32_e32 v20, 1
	v_mov_b32_e32 v21, 0xc8
	;; [unrolled: 1-line block ×3, first 2 shown]
	s_waitcnt vmcnt(0)
	v_cmp_ne_u32_e64 s[20:21], 0, v0
	s_and_saveexec_b64 s[22:23], s[10:11]
	s_cbranch_execz .LBB4_457
.LBB4_439:                              ;   in Loop: Header=BB4_49 Depth=1
	s_and_saveexec_b64 s[60:61], s[42:43]
	s_xor_b64 s[60:61], exec, s[60:61]
	s_cbranch_execz .LBB4_454
; %bb.440:                              ;   in Loop: Header=BB4_49 Depth=1
	s_and_saveexec_b64 s[62:63], s[12:13]
	s_cbranch_execz .LBB4_453
; %bb.441:                              ;   in Loop: Header=BB4_49 Depth=1
	s_mov_b64 s[74:75], exec
	v_mbcnt_lo_u32_b32 v0, s74, 0
	v_mbcnt_hi_u32_b32 v0, s75, v0
	v_cmp_eq_u32_e32 vcc, 0, v0
	s_waitcnt vmcnt(0)
	buffer_wbinvl1_vol
	s_and_saveexec_b64 s[72:73], vcc
	s_cbranch_execz .LBB4_443
; %bb.442:                              ;   in Loop: Header=BB4_49 Depth=1
	s_bcnt1_i32_b64 s74, s[74:75]
	v_mov_b32_e32 v0, s74
	v_mov_b32_e32 v1, v10
	ds_add_u64 v0, v[0:1]
	s_trap 2
.LBB4_443:                              ;   in Loop: Header=BB4_49 Depth=1
	s_or_b64 exec, exec, s[72:73]
	s_trap 2
	ds_read_b64 v[0:1], v0
	s_waitcnt lgkmcnt(0)
	v_add_co_u32_e32 v38, vcc, v38, v28
	v_addc_co_u32_e32 v39, vcc, 0, v39, vcc
	v_cmp_lt_u64_e32 vcc, v[0:1], v[38:39]
	s_and_saveexec_b64 s[72:73], vcc
	s_cbranch_execz .LBB4_452
; %bb.444:                              ;   in Loop: Header=BB4_49 Depth=1
	s_mov_b32 s94, 0
	s_mov_b64 s[74:75], 0
                                        ; implicit-def: $sgpr76_sgpr77
                                        ; implicit-def: $sgpr78_sgpr79
	s_branch .LBB4_446
.LBB4_445:                              ;   in Loop: Header=BB4_446 Depth=2
	s_or_b64 exec, exec, s[90:91]
	s_and_b64 s[88:89], exec, s[92:93]
	s_or_b64 s[74:75], s[88:89], s[74:75]
	s_andn2_b64 s[76:77], s[76:77], exec
	s_and_b64 s[88:89], s[78:79], exec
	s_or_b64 s[76:77], s[76:77], s[88:89]
	s_andn2_b64 exec, exec, s[74:75]
	s_cbranch_execz .LBB4_450
.LBB4_446:                              ;   Parent Loop BB4_49 Depth=1
                                        ; =>  This Inner Loop Header: Depth=2
	s_add_i32 s94, s94, 1
	s_cmpk_lg_i32 s94, 0x2710
	s_cselect_b64 s[88:89], -1, 0
	s_and_b64 vcc, exec, s[88:89]
	s_cbranch_vccz .LBB4_448
; %bb.447:                              ;   in Loop: Header=BB4_446 Depth=2
	s_mov_b64 s[92:93], -1
	s_or_b64 s[78:79], s[78:79], exec
	s_and_saveexec_b64 s[90:91], s[88:89]
	s_cbranch_execz .LBB4_445
	s_branch .LBB4_449
.LBB4_448:                              ;   in Loop: Header=BB4_446 Depth=2
	s_trap 2
	ds_read_b64 v[0:1], v0
	s_andn2_b64 s[88:89], s[88:89], exec
	s_mov_b32 s94, 0
	s_waitcnt lgkmcnt(0)
	flat_load_dword v0, v[0:1] glc
	s_waitcnt vmcnt(0) lgkmcnt(0)
	buffer_wbinvl1_vol
	v_cmp_eq_u32_e32 vcc, 0, v0
	s_and_b64 s[90:91], vcc, exec
	s_or_b64 s[88:89], s[88:89], s[90:91]
	s_mov_b64 s[92:93], -1
	s_or_b64 s[78:79], s[78:79], exec
	s_and_saveexec_b64 s[90:91], s[88:89]
	s_cbranch_execz .LBB4_445
.LBB4_449:                              ;   in Loop: Header=BB4_446 Depth=2
	s_sleep 1
	s_trap 2
	ds_read_b64 v[0:1], v0
	s_waitcnt lgkmcnt(0)
	s_andn2_b64 s[78:79], s[78:79], exec
	v_cmp_ge_u64_e32 vcc, v[0:1], v[38:39]
	s_orn2_b64 s[92:93], vcc, exec
	s_branch .LBB4_445
.LBB4_450:                              ;   in Loop: Header=BB4_49 Depth=1
	s_or_b64 exec, exec, s[74:75]
	s_and_saveexec_b64 s[74:75], s[76:77]
	s_xor_b64 s[74:75], exec, s[74:75]
	s_cbranch_execz .LBB4_452
; %bb.451:                              ;   in Loop: Header=BB4_49 Depth=1
	ds_write_b32 v0, v20
	s_trap 2
.LBB4_452:                              ;   in Loop: Header=BB4_49 Depth=1
	s_or_b64 exec, exec, s[72:73]
	;;#ASMSTART
	s_wakeup
	;;#ASMEND
.LBB4_453:                              ;   in Loop: Header=BB4_49 Depth=1
	s_or_b64 exec, exec, s[62:63]
.LBB4_454:                              ;   in Loop: Header=BB4_49 Depth=1
	s_andn2_saveexec_b64 s[60:61], s[60:61]
	s_cbranch_execz .LBB4_456
; %bb.455:                              ;   in Loop: Header=BB4_49 Depth=1
	s_waitcnt vmcnt(0) lgkmcnt(0)
	buffer_wbinvl1_vol
	s_barrier
.LBB4_456:                              ;   in Loop: Header=BB4_49 Depth=1
	s_or_b64 exec, exec, s[60:61]
.LBB4_457:                              ;   in Loop: Header=BB4_49 Depth=1
	s_or_b64 exec, exec, s[22:23]
	v_and_b32_e32 v0, 16, v62
	v_cmp_ne_u32_e32 vcc, 0, v0
	s_and_b64 s[22:23], vcc, s[20:21]
	s_and_saveexec_b64 s[20:21], s[22:23]
	s_cbranch_execz .LBB4_459
; %bb.458:                              ;   in Loop: Header=BB4_49 Depth=1
	s_waitcnt vmcnt(0) lgkmcnt(0)
	buffer_wbinvl1_vol
.LBB4_459:                              ;   in Loop: Header=BB4_49 Depth=1
	s_or_b64 exec, exec, s[20:21]
	v_cmp_ne_u32_e32 vcc, 0, v0
	s_xor_b64 s[20:21], s[18:19], -1
	s_and_b64 s[22:23], vcc, s[20:21]
	s_and_saveexec_b64 s[20:21], s[22:23]
	s_cbranch_execz .LBB4_461
; %bb.460:                              ;   in Loop: Header=BB4_49 Depth=1
	buffer_load_dword v0, off, s[0:3], s33 offset:172 ; 4-byte Folded Reload
	buffer_load_dword v1, off, s[0:3], s33 offset:176 ; 4-byte Folded Reload
	s_waitcnt vmcnt(0)
	flat_store_dword v[0:1], v20
.LBB4_461:                              ;   in Loop: Header=BB4_49 Depth=1
	s_or_b64 exec, exec, s[20:21]
	v_and_b32_e32 v0, 48, v62
	v_cmp_ne_u32_e32 vcc, 0, v0
	s_and_saveexec_b64 s[20:21], vcc
	s_cbranch_execz .LBB4_463
; %bb.462:                              ;   in Loop: Header=BB4_49 Depth=1
	v_mov_b32_e32 v0, v6
	v_mov_b32_e32 v2, v8
	;; [unrolled: 1-line block ×3, first 2 shown]
	v_add_co_u32_e32 v2, vcc, 1, v2
	v_addc_co_u32_e32 v3, vcc, 0, v3, vcc
	v_mov_b32_e32 v1, v7
	v_mov_b32_e32 v9, v3
	;; [unrolled: 1-line block ×5, first 2 shown]
	flat_store_dwordx2 v[32:33], v[2:3]
.LBB4_463:                              ;   in Loop: Header=BB4_49 Depth=1
	s_or_b64 exec, exec, s[20:21]
	v_mov_b32_e32 v0, v31
.LBB4_464:                              ;   in Loop: Header=BB4_49 Depth=1
	s_or_b64 exec, exec, s[58:59]
	s_and_saveexec_b64 s[22:23], s[56:57]
	s_cbranch_execz .LBB4_48
; %bb.465:                              ;   in Loop: Header=BB4_49 Depth=1
	v_sub_u32_e32 v0, v14, v0
	v_min_i32_e32 v14, v31, v0
	v_and_b32_e32 v0, 12, v62
	v_cmp_ne_u32_e32 vcc, 0, v0
	s_and_saveexec_b64 s[56:57], vcc
	s_cbranch_execz .LBB4_491
; %bb.466:                              ;   in Loop: Header=BB4_49 Depth=1
	v_and_b32_e32 v0, 8, v62
	v_add_co_u32_e32 v1, vcc, v36, v0
	v_mov_b32_e32 v18, v9
	v_addc_co_u32_e32 v2, vcc, 0, v37, vcc
	v_mov_b32_e32 v17, v8
	v_mov_b32_e32 v16, v7
	v_add_co_u32_e32 v16, vcc, 1, v17
	v_addc_co_u32_e32 v17, vcc, 0, v18, vcc
	v_cmp_lt_u64_e32 vcc, v[1:2], v[16:17]
	v_mov_b32_e32 v15, v6
	s_and_saveexec_b64 s[58:59], vcc
	s_cbranch_execz .LBB4_478
; %bb.467:                              ;   in Loop: Header=BB4_49 Depth=1
	v_and_b32_e32 v1, 64, v62
	s_mov_b32 s94, 0
	v_cmp_eq_u32_e32 vcc, 0, v1
	s_mov_b64 s[60:61], 0
                                        ; implicit-def: $sgpr62_sgpr63
                                        ; implicit-def: $sgpr72_sgpr73
                                        ; implicit-def: $sgpr74_sgpr75
	s_branch .LBB4_471
.LBB4_468:                              ;   in Loop: Header=BB4_471 Depth=2
	s_waitcnt vmcnt(0) lgkmcnt(0)
	v_add_co_u32_e64 v2, s[20:21], v36, v0
	v_addc_co_u32_e64 v3, s[20:21], 0, v37, s[20:21]
	v_cmp_ge_u64_e64 s[20:21], v[2:3], v[16:17]
	s_or_b64 s[88:89], s[88:89], exec
	s_orn2_b64 s[78:79], s[20:21], exec
.LBB4_469:                              ;   in Loop: Header=BB4_471 Depth=2
	s_or_b64 exec, exec, s[92:93]
	s_andn2_b64 s[20:21], s[74:75], exec
	s_and_b64 s[74:75], s[88:89], exec
	s_or_b64 s[74:75], s[20:21], s[74:75]
	s_andn2_b64 s[20:21], s[72:73], exec
	s_and_b64 s[72:73], s[78:79], exec
	s_or_b64 s[72:73], s[20:21], s[72:73]
.LBB4_470:                              ;   in Loop: Header=BB4_471 Depth=2
	s_or_b64 exec, exec, s[76:77]
	s_and_b64 s[20:21], exec, s[72:73]
	s_or_b64 s[60:61], s[20:21], s[60:61]
	s_andn2_b64 s[20:21], s[62:63], exec
	s_and_b64 s[62:63], s[74:75], exec
	s_or_b64 s[62:63], s[20:21], s[62:63]
	s_andn2_b64 exec, exec, s[60:61]
	s_cbranch_execz .LBB4_475
.LBB4_471:                              ;   Parent Loop BB4_49 Depth=1
                                        ; =>  This Inner Loop Header: Depth=2
	s_sleep 1
	s_waitcnt vmcnt(0) lgkmcnt(0)
	flat_load_dwordx2 v[36:37], v[32:33] glc
	s_or_b64 s[74:75], s[74:75], exec
	s_or_b64 s[72:73], s[72:73], exec
                                        ; implicit-def: $vgpr1
	s_and_saveexec_b64 s[76:77], vcc
	s_cbranch_execz .LBB4_470
; %bb.472:                              ;   in Loop: Header=BB4_471 Depth=2
	s_cmpk_lt_i32 s94, 0x270f
	s_cselect_b64 s[90:91], -1, 0
	s_cmpk_gt_i32 s94, 0x270e
	s_mov_b64 s[78:79], -1
	s_cbranch_scc0 .LBB4_474
; %bb.473:                              ;   in Loop: Header=BB4_471 Depth=2
	s_trap 2
	ds_read_b64 v[1:2], v0
	s_andn2_b64 s[90:91], s[90:91], exec
	s_mov_b32 s94, 0
	s_mov_b64 s[88:89], 0
	s_waitcnt vmcnt(0) lgkmcnt(0)
	flat_load_dword v1, v[1:2] glc
	s_waitcnt vmcnt(0) lgkmcnt(0)
	buffer_wbinvl1_vol
	v_cmp_eq_u32_e64 s[20:21], 0, v1
	s_and_b64 s[20:21], s[20:21], exec
	s_or_b64 s[90:91], s[90:91], s[20:21]
	s_and_saveexec_b64 s[92:93], s[90:91]
	s_cbranch_execz .LBB4_469
	s_branch .LBB4_468
.LBB4_474:                              ;   in Loop: Header=BB4_471 Depth=2
	s_add_i32 s94, s94, 1
	s_mov_b64 s[88:89], -1
                                        ; implicit-def: $vgpr1
	s_and_saveexec_b64 s[92:93], s[90:91]
	s_cbranch_execz .LBB4_469
	s_branch .LBB4_468
.LBB4_475:                              ;   in Loop: Header=BB4_49 Depth=1
	s_or_b64 exec, exec, s[60:61]
	s_xor_b64 s[20:21], s[62:63], -1
	s_and_saveexec_b64 s[60:61], s[20:21]
	s_xor_b64 s[20:21], exec, s[60:61]
	s_cbranch_execz .LBB4_477
; %bb.476:                              ;   in Loop: Header=BB4_49 Depth=1
	v_or_b32_e32 v62, 64, v62
	s_waitcnt lgkmcnt(0)
	ds_write_b32 v0, v1
	s_trap 2
.LBB4_477:                              ;   in Loop: Header=BB4_49 Depth=1
	s_or_b64 exec, exec, s[20:21]
.LBB4_478:                              ;   in Loop: Header=BB4_49 Depth=1
	s_or_b64 exec, exec, s[58:59]
	v_and_b32_e32 v1, 0x108, v62
	v_cmp_ne_u32_e32 vcc, s39, v1
	;;#ASMSTART
	s_wakeup
	;;#ASMEND
                                        ; implicit-def: $vgpr18_vgpr19
	s_and_saveexec_b64 s[20:21], vcc
	s_xor_b64 s[20:21], exec, s[20:21]
; %bb.479:                              ;   in Loop: Header=BB4_49 Depth=1
	v_and_b32_e32 v18, 7, v8
	v_mov_b32_e32 v19, v10
; %bb.480:                              ;   in Loop: Header=BB4_49 Depth=1
	s_andn2_saveexec_b64 s[20:21], s[20:21]
	s_cbranch_execz .LBB4_482
; %bb.481:                              ;   in Loop: Header=BB4_49 Depth=1
	v_mov_b32_e32 v1, v6
	v_mov_b32_e32 v3, v8
	;; [unrolled: 1-line block ×3, first 2 shown]
	v_and_b32_e32 v18, 7, v3
	v_mad_u64_u32 v[1:2], s[58:59], v18, 24, v[1:2]
	v_ashrrev_i32_e32 v15, 31, v14
	v_lshlrev_b64 v[8:9], 1, v[14:15]
	v_mov_b32_e32 v19, v10
	flat_store_dwordx2 v[1:2], v[8:9] offset:8
.LBB4_482:                              ;   in Loop: Header=BB4_49 Depth=1
	s_or_b64 exec, exec, s[20:21]
	v_and_b32_e32 v1, 0x100, v62
	v_cmp_ne_u32_e32 vcc, 0, v1
	s_mov_b64 s[20:21], -1
                                        ; implicit-def: $vgpr2_vgpr3
	s_and_saveexec_b64 s[58:59], vcc
	s_cbranch_execz .LBB4_486
; %bb.483:                              ;   in Loop: Header=BB4_49 Depth=1
	v_mad_u64_u32 v[8:9], s[20:21], v18, 24, v[6:7]
	v_mov_b32_e32 v1, v9
	v_mad_u64_u32 v[1:2], s[20:21], v19, 24, v[1:2]
                                        ; implicit-def: $vgpr2_vgpr3
	v_mov_b32_e32 v9, v1
	flat_load_dword v1, v[8:9]
	s_waitcnt vmcnt(0) lgkmcnt(0)
	v_cmp_ne_u32_e32 vcc, 1, v1
	v_cmp_eq_u32_e64 s[20:21], 1, v1
	s_and_saveexec_b64 s[60:61], s[20:21]
	s_cbranch_execz .LBB4_485
; %bb.484:                              ;   in Loop: Header=BB4_49 Depth=1
	flat_load_dword v1, v[8:9] offset:4 glc
	s_waitcnt vmcnt(0) lgkmcnt(0)
	v_ashrrev_i32_e32 v2, 31, v1
	v_lshrrev_b64 v[2:3], 1, v[1:2]
.LBB4_485:                              ;   in Loop: Header=BB4_49 Depth=1
	s_or_b64 exec, exec, s[60:61]
	s_orn2_b64 s[20:21], vcc, exec
.LBB4_486:                              ;   in Loop: Header=BB4_49 Depth=1
	s_or_b64 exec, exec, s[58:59]
	s_and_saveexec_b64 s[58:59], s[20:21]
	s_cbranch_execz .LBB4_488
; %bb.487:                              ;   in Loop: Header=BB4_49 Depth=1
	buffer_load_dword v2, off, s[0:3], s33 offset:168 ; 4-byte Folded Reload
	buffer_load_dword v3, off, s[0:3], s33 offset:184 ; 4-byte Folded Reload
	s_waitcnt vmcnt(0)
	v_mul_lo_u32 v1, v19, v2
	v_mul_lo_u32 v8, v18, v3
	v_mad_u64_u32 v[2:3], s[20:21], v18, v2, 0
	v_add3_u32 v3, v3, v8, v1
.LBB4_488:                              ;   in Loop: Header=BB4_49 Depth=1
	s_or_b64 exec, exec, s[58:59]
	v_cmp_eq_u32_e32 vcc, 0, v0
	v_lshlrev_b64 v[0:1], 1, v[2:3]
	buffer_load_dword v2, off, s[0:3], s33 offset:128 ; 4-byte Folded Reload
	buffer_load_dword v3, off, s[0:3], s33 offset:132 ; 4-byte Folded Reload
	v_cndmask_b32_e32 v8, v21, v22, vcc
	s_waitcnt vmcnt(0)
	v_add_co_u32_e32 v0, vcc, v2, v0
	v_addc_co_u32_e32 v1, vcc, v3, v1, vcc
	v_add_u32_e32 v2, v0, v8
	ds_write_b64 v2, v[0:1] offset:584
	v_and_b32_e32 v0, 0x2000, v62
	v_cmp_ne_u32_e32 vcc, 0, v0
	s_and_saveexec_b64 s[20:21], vcc
	s_cbranch_execz .LBB4_490
; %bb.489:                              ;   in Loop: Header=BB4_49 Depth=1
	ds_read_b64 v[0:1], v0 offset:872
	s_waitcnt lgkmcnt(0)
	v_add_co_u32_e32 v0, vcc, 1, v0
	v_addc_co_u32_e32 v1, vcc, 0, v1, vcc
	ds_write_b64 v0, v[0:1] offset:872
.LBB4_490:                              ;   in Loop: Header=BB4_49 Depth=1
	s_or_b64 exec, exec, s[20:21]
	v_mov_b32_e32 v8, v16
	v_mov_b32_e32 v9, v17
.LBB4_491:                              ;   in Loop: Header=BB4_49 Depth=1
	s_or_b64 exec, exec, s[56:57]
	s_and_saveexec_b64 s[20:21], s[10:11]
	s_cbranch_execz .LBB4_510
; %bb.492:                              ;   in Loop: Header=BB4_49 Depth=1
	s_and_saveexec_b64 s[56:57], s[42:43]
	s_xor_b64 s[56:57], exec, s[56:57]
	s_cbranch_execz .LBB4_507
; %bb.493:                              ;   in Loop: Header=BB4_49 Depth=1
	s_and_saveexec_b64 s[58:59], s[12:13]
	s_cbranch_execz .LBB4_506
; %bb.494:                              ;   in Loop: Header=BB4_49 Depth=1
	s_mov_b64 s[62:63], exec
	v_mbcnt_lo_u32_b32 v0, s62, 0
	v_mbcnt_hi_u32_b32 v0, s63, v0
	v_cmp_eq_u32_e32 vcc, 0, v0
	s_waitcnt vmcnt(0) lgkmcnt(0)
	buffer_wbinvl1_vol
	s_and_saveexec_b64 s[60:61], vcc
	s_cbranch_execz .LBB4_496
; %bb.495:                              ;   in Loop: Header=BB4_49 Depth=1
	s_bcnt1_i32_b64 s62, s[62:63]
	v_mov_b32_e32 v0, s62
	v_mov_b32_e32 v1, v10
	ds_add_u64 v0, v[0:1]
	s_trap 2
.LBB4_496:                              ;   in Loop: Header=BB4_49 Depth=1
	s_or_b64 exec, exec, s[60:61]
	s_trap 2
	ds_read_b64 v[0:1], v0
	s_waitcnt lgkmcnt(0)
	v_add_co_u32_e32 v38, vcc, v38, v28
	v_addc_co_u32_e32 v39, vcc, 0, v39, vcc
	v_cmp_lt_u64_e32 vcc, v[0:1], v[38:39]
	s_and_saveexec_b64 s[60:61], vcc
	s_cbranch_execz .LBB4_505
; %bb.497:                              ;   in Loop: Header=BB4_49 Depth=1
	s_mov_b32 s90, 0
	s_mov_b64 s[62:63], 0
                                        ; implicit-def: $sgpr72_sgpr73
                                        ; implicit-def: $sgpr74_sgpr75
	s_branch .LBB4_499
.LBB4_498:                              ;   in Loop: Header=BB4_499 Depth=2
	s_or_b64 exec, exec, s[78:79]
	s_and_b64 s[76:77], exec, s[88:89]
	s_or_b64 s[62:63], s[76:77], s[62:63]
	s_andn2_b64 s[72:73], s[72:73], exec
	s_and_b64 s[76:77], s[74:75], exec
	s_or_b64 s[72:73], s[72:73], s[76:77]
	s_andn2_b64 exec, exec, s[62:63]
	s_cbranch_execz .LBB4_503
.LBB4_499:                              ;   Parent Loop BB4_49 Depth=1
                                        ; =>  This Inner Loop Header: Depth=2
	s_add_i32 s90, s90, 1
	s_cmpk_lg_i32 s90, 0x2710
	s_cselect_b64 s[76:77], -1, 0
	s_and_b64 vcc, exec, s[76:77]
	s_cbranch_vccz .LBB4_501
; %bb.500:                              ;   in Loop: Header=BB4_499 Depth=2
	s_mov_b64 s[88:89], -1
	s_or_b64 s[74:75], s[74:75], exec
	s_and_saveexec_b64 s[78:79], s[76:77]
	s_cbranch_execz .LBB4_498
	s_branch .LBB4_502
.LBB4_501:                              ;   in Loop: Header=BB4_499 Depth=2
	s_trap 2
	ds_read_b64 v[0:1], v0
	s_andn2_b64 s[76:77], s[76:77], exec
	s_mov_b32 s90, 0
	s_waitcnt lgkmcnt(0)
	flat_load_dword v0, v[0:1] glc
	s_waitcnt vmcnt(0) lgkmcnt(0)
	buffer_wbinvl1_vol
	v_cmp_eq_u32_e32 vcc, 0, v0
	s_and_b64 s[78:79], vcc, exec
	s_or_b64 s[76:77], s[76:77], s[78:79]
	s_mov_b64 s[88:89], -1
	s_or_b64 s[74:75], s[74:75], exec
	s_and_saveexec_b64 s[78:79], s[76:77]
	s_cbranch_execz .LBB4_498
.LBB4_502:                              ;   in Loop: Header=BB4_499 Depth=2
	s_sleep 1
	s_trap 2
	ds_read_b64 v[0:1], v0
	s_waitcnt lgkmcnt(0)
	s_andn2_b64 s[74:75], s[74:75], exec
	v_cmp_ge_u64_e32 vcc, v[0:1], v[38:39]
	s_orn2_b64 s[88:89], vcc, exec
	s_branch .LBB4_498
.LBB4_503:                              ;   in Loop: Header=BB4_49 Depth=1
	s_or_b64 exec, exec, s[62:63]
	s_and_saveexec_b64 s[62:63], s[72:73]
	s_xor_b64 s[62:63], exec, s[62:63]
	s_cbranch_execz .LBB4_505
; %bb.504:                              ;   in Loop: Header=BB4_49 Depth=1
	ds_write_b32 v0, v20
	s_trap 2
.LBB4_505:                              ;   in Loop: Header=BB4_49 Depth=1
	s_or_b64 exec, exec, s[60:61]
	;;#ASMSTART
	s_wakeup
	;;#ASMEND
.LBB4_506:                              ;   in Loop: Header=BB4_49 Depth=1
	s_or_b64 exec, exec, s[58:59]
.LBB4_507:                              ;   in Loop: Header=BB4_49 Depth=1
	s_andn2_saveexec_b64 s[56:57], s[56:57]
	s_cbranch_execz .LBB4_509
; %bb.508:                              ;   in Loop: Header=BB4_49 Depth=1
	s_waitcnt vmcnt(0) lgkmcnt(0)
	buffer_wbinvl1_vol
	s_barrier
.LBB4_509:                              ;   in Loop: Header=BB4_49 Depth=1
	s_or_b64 exec, exec, s[56:57]
.LBB4_510:                              ;   in Loop: Header=BB4_49 Depth=1
	s_or_b64 exec, exec, s[20:21]
	s_trap 2
	ds_read_b32 v1, v0
	v_cmp_lt_i32_e32 vcc, 0, v14
	v_and_b32_e32 v0, 16, v62
	s_waitcnt lgkmcnt(0)
	v_readfirstlane_b32 s20, v1
	s_cmp_eq_u32 s20, 0
	s_cselect_b64 s[20:21], -1, 0
	s_and_b64 s[20:21], vcc, s[20:21]
	v_cmp_ne_u32_e32 vcc, 0, v0
	s_and_b64 s[56:57], vcc, s[20:21]
	s_and_saveexec_b64 s[20:21], s[56:57]
	s_cbranch_execz .LBB4_512
; %bb.511:                              ;   in Loop: Header=BB4_49 Depth=1
	s_waitcnt vmcnt(0)
	buffer_wbinvl1_vol
.LBB4_512:                              ;   in Loop: Header=BB4_49 Depth=1
	s_or_b64 exec, exec, s[20:21]
	v_cmp_ne_u32_e32 vcc, 0, v0
	s_xor_b64 s[20:21], s[18:19], -1
	s_and_b64 s[56:57], vcc, s[20:21]
	s_and_saveexec_b64 s[20:21], s[56:57]
	s_cbranch_execz .LBB4_514
; %bb.513:                              ;   in Loop: Header=BB4_49 Depth=1
	buffer_load_dword v0, off, s[0:3], s33 offset:172 ; 4-byte Folded Reload
	buffer_load_dword v1, off, s[0:3], s33 offset:176 ; 4-byte Folded Reload
	s_waitcnt vmcnt(0)
	flat_store_dword v[0:1], v20
.LBB4_514:                              ;   in Loop: Header=BB4_49 Depth=1
	s_or_b64 exec, exec, s[20:21]
	v_and_b32_e32 v0, 48, v62
	v_cmp_ne_u32_e32 vcc, 0, v0
	s_and_saveexec_b64 s[20:21], vcc
	s_cbranch_execz .LBB4_47
; %bb.515:                              ;   in Loop: Header=BB4_49 Depth=1
	v_mov_b32_e32 v0, v6
	v_mov_b32_e32 v2, v8
	;; [unrolled: 1-line block ×3, first 2 shown]
	v_add_co_u32_e32 v2, vcc, 1, v2
	v_addc_co_u32_e32 v3, vcc, 0, v3, vcc
	v_mov_b32_e32 v1, v7
	v_mov_b32_e32 v9, v3
	;; [unrolled: 1-line block ×5, first 2 shown]
	flat_store_dwordx2 v[32:33], v[2:3]
	s_branch .LBB4_47
.LBB4_516:
	s_or_b64 exec, exec, s[44:45]
	buffer_load_dword v25, off, s[0:3], s33 offset:220 ; 4-byte Folded Reload
	buffer_load_dword v26, off, s[0:3], s33 offset:224 ; 4-byte Folded Reload
	v_mov_b32_e32 v4, v6
	v_mov_b32_e32 v5, v7
	;; [unrolled: 1-line block ×4, first 2 shown]
.LBB4_517:
	s_or_b64 exec, exec, s[40:41]
                                        ; implicit-def: $vgpr0_vgpr1
                                        ; kill: killed $vgpr0_vgpr1
                                        ; implicit-def: $vgpr28_vgpr29
                                        ; implicit-def: $vgpr36_vgpr37
                                        ; implicit-def: $vgpr32_vgpr33
                                        ; implicit-def: $vgpr27
                                        ; implicit-def: $vgpr30
                                        ; implicit-def: $vgpr0
                                        ; kill: killed $vgpr0
                                        ; implicit-def: $vgpr0_vgpr1
                                        ; kill: killed $vgpr0_vgpr1
                                        ; implicit-def: $vgpr1
.LBB4_518:
	s_andn2_saveexec_b64 s[22:23], s[28:29]
	s_cbranch_execz .LBB4_980
; %bb.519:
	v_mov_b32_e32 v38, 0
	v_cmp_ne_u64_e32 vcc, 0, v[28:29]
	v_mov_b32_e32 v39, 0
	s_and_saveexec_b64 s[28:29], vcc
	s_cbranch_execz .LBB4_979
; %bb.520:
	s_waitcnt vmcnt(0)
	buffer_store_dword v25, off, s[0:3], s33 offset:220 ; 4-byte Folded Spill
	s_nop 0
	buffer_store_dword v26, off, s[0:3], s33 offset:224 ; 4-byte Folded Spill
	s_trap 2
	buffer_load_dword v0, off, s[0:3], s33 offset:196 ; 4-byte Folded Reload
	v_lshrrev_b32_e32 v25, 6, v24
	s_lshr_b32 s18, s33, 6
	v_lshlrev_b32_e32 v51, 10, v25
	s_add_i32 s95, s18, 0x70
	s_lshr_b32 s18, s33, 6
	v_add_u32_e32 v52, 0xfffffc00, v51
	s_movk_i32 s34, 0x400
	s_add_i32 s31, s18, 0x50
	v_ashrrev_i32_e32 v53, 31, v52
	s_waitcnt lgkmcnt(0)
	v_mov_b32_e32 v9, v7
	s_lshr_b32 s6, s30, 27
	v_mov_b32_e32 v8, v6
	v_mov_b32_e32 v7, v5
	;; [unrolled: 1-line block ×3, first 2 shown]
	s_add_i32 s6, s30, s6
	v_cmp_eq_u32_e32 vcc, 64, v24
	v_mov_b32_e32 v12, 0
	v_mov_b32_e32 v38, 0
	;; [unrolled: 1-line block ×4, first 2 shown]
	s_ashr_i32 s94, s6, 5
	v_cmp_ge_i32_e64 s[6:7], v27, v24
	v_cmp_ne_u32_e64 s[10:11], 64, v24
	v_mov_b32_e32 v11, 0
	s_mov_b64 s[42:43], 0
	v_mov_b32_e32 v13, 0
	v_mov_b32_e32 v39, 0
	s_xor_b64 s[44:45], vcc, -1
	s_mov_b32 s37, 0x7f800000
	s_movk_i32 s38, 0x7fff
	s_mov_b32 s39, 0xffff0000
	v_mov_b32_e32 v5, v29
	v_mov_b32_e32 v48, v30
	s_waitcnt vmcnt(0)
	v_cmp_ne_u32_sdwa s[40:41], v24, v0 src0_sel:DWORD src1_sel:WORD_0
	buffer_load_dword v0, off, s[0:3], s33 offset:192 ; 4-byte Folded Reload
	s_waitcnt vmcnt(0)
	v_and_b32_e32 v0, 63, v0
	v_cmp_eq_u32_e64 s[12:13], 0, v0
	v_ashrrev_i32_e32 v0, 31, v27
	v_lshrrev_b32_e32 v0, 26, v0
	v_add_u32_e32 v0, v27, v0
	v_and_b32_e32 v2, 0xffffffc0, v0
	v_ashrrev_i32_e32 v0, 6, v0
	v_sub_u32_e32 v2, v27, v2
	v_sub_u32_e32 v0, 0, v0
	buffer_store_dword v2, off, s[0:3], s33 offset:180 ; 4-byte Folded Spill
	buffer_store_dword v0, off, s[0:3], s33 offset:208 ; 4-byte Folded Spill
	;; [unrolled: 1-line block ×3, first 2 shown]
	v_lshlrev_b32_e32 v0, 4, v27
	buffer_store_dword v0, off, s[0:3], s33 offset:184 ; 4-byte Folded Spill
	v_ashrrev_i32_e32 v0, 31, v0
	buffer_store_dword v0, off, s[0:3], s33 offset:204 ; 4-byte Folded Spill
	v_add_co_u32_e64 v0, s[18:19], s34, v52
	buffer_store_dword v0, off, s[0:3], s33 offset:136 ; 4-byte Folded Spill
	v_addc_co_u32_e64 v0, s[18:19], 0, v53, s[18:19]
	s_lshr_b32 s18, s33, 6
	buffer_store_dword v0, off, s[0:3], s33 offset:152 ; 4-byte Folded Spill
	s_add_i32 s35, s18, 0x70
	s_lshr_b32 s18, s33, 6
	v_mov_b32_e32 v0, 0xfffffe00
	s_add_i32 s36, s18, 0x50
	v_lshl_add_u32 v40, v25, 9, v0
	s_movk_i32 s18, 0x200
	v_ashrrev_i32_e32 v0, 31, v40
	v_add_co_u32_e64 v42, s[18:19], s18, v40
	v_addc_co_u32_e64 v43, s[18:19], 0, v0, s[18:19]
	v_lshlrev_b32_e32 v0, 7, v25
	v_add_u32_e32 v41, 0xffffff80, v0
	s_movk_i32 s18, 0x80
	v_cmp_le_i32_e64 s[14:15], v2, v1
	v_ashrrev_i32_e32 v0, 31, v41
	v_add_co_u32_e64 v1, s[18:19], s18, v41
	v_cmp_gt_i32_e64 s[16:17], 1, v2
	v_addc_co_u32_e64 v0, s[18:19], 0, v0, s[18:19]
	buffer_store_dword v1, off, s[0:3], s33 offset:212 ; 4-byte Folded Spill
	buffer_store_dword v0, off, s[0:3], s33 offset:228 ; 4-byte Folded Spill
	s_branch .LBB4_523
.LBB4_521:                              ;   in Loop: Header=BB4_523 Depth=1
	s_or_b64 exec, exec, s[18:19]
.LBB4_522:                              ;   in Loop: Header=BB4_523 Depth=1
	s_or_b64 exec, exec, s[20:21]
	v_add_co_u32_e32 v12, vcc, v12, v30
	v_addc_co_u32_e32 v13, vcc, 0, v13, vcc
	v_cmp_ge_u64_e32 vcc, v[12:13], v[28:29]
	s_or_b64 s[42:43], vcc, s[42:43]
	s_andn2_b64 exec, exec, s[42:43]
	s_cbranch_execz .LBB4_978
.LBB4_523:                              ; =>This Loop Header: Depth=1
                                        ;     Child Loop BB4_532 Depth 2
                                        ;     Child Loop BB4_556 Depth 2
	;; [unrolled: 1-line block ×4, first 2 shown]
                                        ;       Child Loop BB4_601 Depth 3
                                        ;       Child Loop BB4_638 Depth 3
                                        ;     Child Loop BB4_713 Depth 2
                                        ;       Child Loop BB4_714 Depth 3
                                        ;       Child Loop BB4_751 Depth 3
                                        ;     Child Loop BB4_828 Depth 2
                                        ;     Child Loop BB4_887 Depth 2
                                        ;       Child Loop BB4_888 Depth 3
                                        ;       Child Loop BB4_897 Depth 3
                                        ;     Child Loop BB4_916 Depth 2
                                        ;     Child Loop BB4_939 Depth 2
	;; [unrolled: 1-line block ×3, first 2 shown]
	v_sub_co_u32_e32 v0, vcc, v28, v12
	v_subb_co_u32_e32 v1, vcc, v29, v13, vcc
	v_cmp_lt_u64_e32 vcc, v[30:31], v[0:1]
	v_cndmask_b32_e64 v15, v1, 0, vcc
	v_cndmask_b32_e32 v14, v0, v30, vcc
	v_cmp_eq_u64_e32 vcc, 0, v[14:15]
	v_add_u32_e32 v0, 15, v14
	v_and_b32_e32 v0, 0x3ffffff0, v0
	s_or_b64 s[46:47], s[6:7], vcc
	v_max_i32_e32 v58, s94, v0
	s_xor_b64 s[18:19], s[46:47], -1
	v_mov_b32_e32 v1, 0
	s_and_saveexec_b64 s[56:57], s[18:19]
	s_cbranch_execz .LBB4_932
; %bb.524:                              ;   in Loop: Header=BB4_523 Depth=1
	s_and_saveexec_b64 s[18:19], s[4:5]
	s_cbranch_execz .LBB4_526
; %bb.525:                              ;   in Loop: Header=BB4_523 Depth=1
	s_trap 2
	ds_read2_b64 v[0:3], v0 offset1:1
	buffer_load_dword v15, off, s[0:3], s33 offset:160 ; 4-byte Folded Reload
	buffer_load_dword v16, off, s[0:3], s33 offset:164 ; 4-byte Folded Reload
	s_waitcnt lgkmcnt(0)
	ds_read_b64 v[17:18], v0
	s_waitcnt vmcnt(0)
	v_add_co_u32_e32 v15, vcc, v12, v15
	s_waitcnt vmcnt(0)
	v_addc_co_u32_e32 v16, vcc, v13, v16, vcc
	v_lshlrev_b64 v[15:16], 1, v[15:16]
	v_add_co_u32_e32 v0, vcc, v0, v15
	v_addc_co_u32_e32 v1, vcc, v1, v16, vcc
	ds_write_b64 v0, v[0:1]
	v_add_co_u32_e32 v0, vcc, v2, v15
	v_addc_co_u32_e32 v1, vcc, v3, v16, vcc
	ds_write_b64 v0, v[0:1]
	s_waitcnt lgkmcnt(2)
	v_add_co_u32_e32 v0, vcc, v17, v15
	v_addc_co_u32_e32 v1, vcc, v18, v16, vcc
	v_cmp_ne_u64_e32 vcc, 0, v[17:18]
	v_cndmask_b32_e32 v1, 0, v1, vcc
	v_cndmask_b32_e32 v0, 0, v0, vcc
	ds_write_b64 v0, v[0:1]
.LBB4_526:                              ;   in Loop: Header=BB4_523 Depth=1
	s_or_b64 exec, exec, s[18:19]
	v_and_b32_e32 v0, 4, v62
	v_cmp_ne_u32_e32 vcc, 0, v0
	s_and_saveexec_b64 s[20:21], vcc
	s_cbranch_execz .LBB4_548
; %bb.527:                              ;   in Loop: Header=BB4_523 Depth=1
	v_mov_b32_e32 v0, v6
	v_mov_b32_e32 v2, v8
	;; [unrolled: 1-line block ×3, first 2 shown]
	v_add_co_u32_e32 v15, vcc, 1, v2
	v_addc_co_u32_e32 v16, vcc, 0, v3, vcc
	v_cmp_lt_u64_e32 vcc, v[36:37], v[15:16]
	v_mov_b32_e32 v1, v7
	s_and_saveexec_b64 s[58:59], vcc
	s_cbranch_execz .LBB4_539
; %bb.528:                              ;   in Loop: Header=BB4_523 Depth=1
	v_and_b32_e32 v0, 64, v62
	s_mov_b32 s48, 0
	v_cmp_eq_u32_e32 vcc, 0, v0
	s_mov_b64 s[60:61], 0
                                        ; implicit-def: $sgpr62_sgpr63
                                        ; implicit-def: $sgpr72_sgpr73
                                        ; implicit-def: $sgpr74_sgpr75
	s_branch .LBB4_532
.LBB4_529:                              ;   in Loop: Header=BB4_532 Depth=2
	s_waitcnt vmcnt(0) lgkmcnt(0)
	v_cmp_ge_u64_e64 s[18:19], v[36:37], v[15:16]
	s_or_b64 s[88:89], s[88:89], exec
	s_orn2_b64 s[78:79], s[18:19], exec
.LBB4_530:                              ;   in Loop: Header=BB4_532 Depth=2
	s_or_b64 exec, exec, s[92:93]
	s_andn2_b64 s[18:19], s[74:75], exec
	s_and_b64 s[74:75], s[88:89], exec
	s_or_b64 s[74:75], s[18:19], s[74:75]
	s_andn2_b64 s[18:19], s[72:73], exec
	s_and_b64 s[72:73], s[78:79], exec
	s_or_b64 s[72:73], s[18:19], s[72:73]
.LBB4_531:                              ;   in Loop: Header=BB4_532 Depth=2
	s_or_b64 exec, exec, s[76:77]
	s_and_b64 s[18:19], exec, s[72:73]
	s_or_b64 s[60:61], s[18:19], s[60:61]
	s_andn2_b64 s[18:19], s[62:63], exec
	s_and_b64 s[62:63], s[74:75], exec
	s_or_b64 s[62:63], s[18:19], s[62:63]
	s_andn2_b64 exec, exec, s[60:61]
	s_cbranch_execz .LBB4_536
.LBB4_532:                              ;   Parent Loop BB4_523 Depth=1
                                        ; =>  This Inner Loop Header: Depth=2
	s_sleep 1
	s_waitcnt vmcnt(0) lgkmcnt(0)
	flat_load_dwordx2 v[36:37], v[32:33] glc
	s_or_b64 s[74:75], s[74:75], exec
	s_or_b64 s[72:73], s[72:73], exec
                                        ; implicit-def: $vgpr0
	s_and_saveexec_b64 s[76:77], vcc
	s_cbranch_execz .LBB4_531
; %bb.533:                              ;   in Loop: Header=BB4_532 Depth=2
	s_cmpk_lt_i32 s48, 0x270f
	s_cselect_b64 s[90:91], -1, 0
	s_cmpk_gt_i32 s48, 0x270e
	s_mov_b64 s[78:79], -1
	s_cbranch_scc0 .LBB4_535
; %bb.534:                              ;   in Loop: Header=BB4_532 Depth=2
	s_trap 2
	ds_read_b64 v[0:1], v0
	s_andn2_b64 s[90:91], s[90:91], exec
	s_mov_b32 s48, 0
	s_mov_b64 s[88:89], 0
	s_waitcnt vmcnt(0) lgkmcnt(0)
	flat_load_dword v0, v[0:1] glc
	s_waitcnt vmcnt(0) lgkmcnt(0)
	buffer_wbinvl1_vol
	v_cmp_eq_u32_e64 s[18:19], 0, v0
	s_and_b64 s[18:19], s[18:19], exec
	s_or_b64 s[90:91], s[90:91], s[18:19]
	s_and_saveexec_b64 s[92:93], s[90:91]
	s_cbranch_execz .LBB4_530
	s_branch .LBB4_529
.LBB4_535:                              ;   in Loop: Header=BB4_532 Depth=2
	s_add_i32 s48, s48, 1
	s_mov_b64 s[88:89], -1
                                        ; implicit-def: $vgpr0
	s_and_saveexec_b64 s[92:93], s[90:91]
	s_cbranch_execz .LBB4_530
	s_branch .LBB4_529
.LBB4_536:                              ;   in Loop: Header=BB4_523 Depth=1
	s_or_b64 exec, exec, s[60:61]
	s_xor_b64 s[18:19], s[62:63], -1
	s_and_saveexec_b64 s[60:61], s[18:19]
	s_xor_b64 s[18:19], exec, s[60:61]
	s_cbranch_execz .LBB4_538
; %bb.537:                              ;   in Loop: Header=BB4_523 Depth=1
	v_or_b32_e32 v62, 64, v62
	s_waitcnt lgkmcnt(0)
	ds_write_b32 v0, v0
	s_trap 2
.LBB4_538:                              ;   in Loop: Header=BB4_523 Depth=1
	s_or_b64 exec, exec, s[18:19]
.LBB4_539:                              ;   in Loop: Header=BB4_523 Depth=1
	s_or_b64 exec, exec, s[58:59]
	v_and_b32_e32 v0, 0x100, v62
	v_cmp_ne_u32_e32 vcc, 0, v0
	v_and_b32_e32 v0, 7, v8
	s_mov_b64 s[18:19], -1
	;;#ASMSTART
	s_wakeup
	;;#ASMEND
                                        ; implicit-def: $vgpr2_vgpr3
	s_and_saveexec_b64 s[58:59], vcc
	s_cbranch_execz .LBB4_543
; %bb.540:                              ;   in Loop: Header=BB4_523 Depth=1
	v_mad_u64_u32 v[8:9], s[18:19], v0, 24, v[6:7]
                                        ; implicit-def: $vgpr2_vgpr3
	flat_load_dword v1, v[8:9]
	s_waitcnt vmcnt(0) lgkmcnt(0)
	v_cmp_ne_u32_e32 vcc, 1, v1
	v_cmp_eq_u32_e64 s[18:19], 1, v1
	s_and_saveexec_b64 s[60:61], s[18:19]
	s_cbranch_execz .LBB4_542
; %bb.541:                              ;   in Loop: Header=BB4_523 Depth=1
	flat_load_dword v1, v[8:9] offset:4 glc
	s_waitcnt vmcnt(0) lgkmcnt(0)
	v_ashrrev_i32_e32 v2, 31, v1
	v_lshrrev_b64 v[2:3], 1, v[1:2]
.LBB4_542:                              ;   in Loop: Header=BB4_523 Depth=1
	s_or_b64 exec, exec, s[60:61]
	s_orn2_b64 s[18:19], vcc, exec
.LBB4_543:                              ;   in Loop: Header=BB4_523 Depth=1
	s_or_b64 exec, exec, s[58:59]
	s_and_saveexec_b64 s[58:59], s[18:19]
	s_cbranch_execz .LBB4_545
; %bb.544:                              ;   in Loop: Header=BB4_523 Depth=1
	buffer_load_dword v1, off, s[0:3], s33 offset:168 ; 4-byte Folded Reload
	s_waitcnt vmcnt(0)
	v_mad_i64_i32 v[2:3], s[18:19], v0, v1, 0
.LBB4_545:                              ;   in Loop: Header=BB4_523 Depth=1
	s_or_b64 exec, exec, s[58:59]
	v_lshlrev_b64 v[0:1], 1, v[2:3]
	buffer_load_dword v2, off, s[0:3], s33 offset:128 ; 4-byte Folded Reload
	buffer_load_dword v3, off, s[0:3], s33 offset:132 ; 4-byte Folded Reload
	s_waitcnt vmcnt(0)
	v_add_co_u32_e32 v0, vcc, v2, v0
	v_addc_co_u32_e32 v1, vcc, v3, v1, vcc
	ds_write_b64 v0, v[0:1] offset:728
	v_and_b32_e32 v0, 0x2000, v62
	v_cmp_ne_u32_e32 vcc, 0, v0
	s_and_saveexec_b64 s[18:19], vcc
	s_cbranch_execz .LBB4_547
; %bb.546:                              ;   in Loop: Header=BB4_523 Depth=1
	ds_read_b64 v[0:1], v0 offset:872
	s_waitcnt lgkmcnt(0)
	v_add_co_u32_e32 v0, vcc, 1, v0
	v_addc_co_u32_e32 v1, vcc, 0, v1, vcc
	ds_write_b64 v0, v[0:1] offset:872
.LBB4_547:                              ;   in Loop: Header=BB4_523 Depth=1
	s_or_b64 exec, exec, s[18:19]
	v_mov_b32_e32 v8, v15
	v_mov_b32_e32 v9, v16
.LBB4_548:                              ;   in Loop: Header=BB4_523 Depth=1
	s_or_b64 exec, exec, s[20:21]
	s_and_saveexec_b64 s[18:19], s[10:11]
	s_cbranch_execz .LBB4_567
; %bb.549:                              ;   in Loop: Header=BB4_523 Depth=1
	s_and_saveexec_b64 s[20:21], s[40:41]
	s_xor_b64 s[20:21], exec, s[20:21]
	s_cbranch_execz .LBB4_564
; %bb.550:                              ;   in Loop: Header=BB4_523 Depth=1
	s_and_saveexec_b64 s[58:59], s[12:13]
	s_cbranch_execz .LBB4_563
; %bb.551:                              ;   in Loop: Header=BB4_523 Depth=1
	s_mov_b64 s[62:63], exec
	v_mbcnt_lo_u32_b32 v0, s62, 0
	v_mbcnt_hi_u32_b32 v0, s63, v0
	v_cmp_eq_u32_e32 vcc, 0, v0
	s_waitcnt vmcnt(0) lgkmcnt(0)
	buffer_wbinvl1_vol
	s_and_saveexec_b64 s[60:61], vcc
	s_cbranch_execz .LBB4_553
; %bb.552:                              ;   in Loop: Header=BB4_523 Depth=1
	s_bcnt1_i32_b64 s62, s[62:63]
	v_mov_b32_e32 v10, s62
	ds_add_u64 v0, v[10:11]
	s_trap 2
.LBB4_553:                              ;   in Loop: Header=BB4_523 Depth=1
	s_or_b64 exec, exec, s[60:61]
	s_trap 2
	ds_read_b64 v[0:1], v0
	s_waitcnt lgkmcnt(0)
	v_add_co_u32_e32 v38, vcc, v38, v25
	v_addc_co_u32_e32 v39, vcc, 0, v39, vcc
	v_cmp_lt_u64_e32 vcc, v[0:1], v[38:39]
	s_and_saveexec_b64 s[60:61], vcc
	s_cbranch_execz .LBB4_562
; %bb.554:                              ;   in Loop: Header=BB4_523 Depth=1
	s_mov_b32 s90, 0
	s_mov_b64 s[62:63], 0
                                        ; implicit-def: $sgpr72_sgpr73
                                        ; implicit-def: $sgpr74_sgpr75
	s_branch .LBB4_556
.LBB4_555:                              ;   in Loop: Header=BB4_556 Depth=2
	s_or_b64 exec, exec, s[78:79]
	s_and_b64 s[76:77], exec, s[88:89]
	s_or_b64 s[62:63], s[76:77], s[62:63]
	s_andn2_b64 s[72:73], s[72:73], exec
	s_and_b64 s[76:77], s[74:75], exec
	s_or_b64 s[72:73], s[72:73], s[76:77]
	s_andn2_b64 exec, exec, s[62:63]
	s_cbranch_execz .LBB4_560
.LBB4_556:                              ;   Parent Loop BB4_523 Depth=1
                                        ; =>  This Inner Loop Header: Depth=2
	s_add_i32 s90, s90, 1
	s_cmpk_lg_i32 s90, 0x2710
	s_cselect_b64 s[76:77], -1, 0
	s_and_b64 vcc, exec, s[76:77]
	s_cbranch_vccz .LBB4_558
; %bb.557:                              ;   in Loop: Header=BB4_556 Depth=2
	s_mov_b64 s[88:89], -1
	s_or_b64 s[74:75], s[74:75], exec
	s_and_saveexec_b64 s[78:79], s[76:77]
	s_cbranch_execz .LBB4_555
	s_branch .LBB4_559
.LBB4_558:                              ;   in Loop: Header=BB4_556 Depth=2
	s_trap 2
	ds_read_b64 v[0:1], v0
	s_andn2_b64 s[76:77], s[76:77], exec
	s_mov_b32 s90, 0
	s_waitcnt lgkmcnt(0)
	flat_load_dword v0, v[0:1] glc
	s_waitcnt vmcnt(0) lgkmcnt(0)
	buffer_wbinvl1_vol
	v_cmp_eq_u32_e32 vcc, 0, v0
	s_and_b64 s[78:79], vcc, exec
	s_or_b64 s[76:77], s[76:77], s[78:79]
	s_mov_b64 s[88:89], -1
	s_or_b64 s[74:75], s[74:75], exec
	s_and_saveexec_b64 s[78:79], s[76:77]
	s_cbranch_execz .LBB4_555
.LBB4_559:                              ;   in Loop: Header=BB4_556 Depth=2
	s_sleep 1
	s_trap 2
	ds_read_b64 v[0:1], v0
	s_waitcnt lgkmcnt(0)
	s_andn2_b64 s[74:75], s[74:75], exec
	v_cmp_ge_u64_e32 vcc, v[0:1], v[38:39]
	s_orn2_b64 s[88:89], vcc, exec
	s_branch .LBB4_555
.LBB4_560:                              ;   in Loop: Header=BB4_523 Depth=1
	s_or_b64 exec, exec, s[62:63]
	s_and_saveexec_b64 s[62:63], s[72:73]
	s_xor_b64 s[62:63], exec, s[62:63]
	s_cbranch_execz .LBB4_562
; %bb.561:                              ;   in Loop: Header=BB4_523 Depth=1
	v_mov_b32_e32 v0, 1
	ds_write_b32 v0, v0
	s_trap 2
.LBB4_562:                              ;   in Loop: Header=BB4_523 Depth=1
	s_or_b64 exec, exec, s[60:61]
	;;#ASMSTART
	s_wakeup
	;;#ASMEND
.LBB4_563:                              ;   in Loop: Header=BB4_523 Depth=1
	s_or_b64 exec, exec, s[58:59]
.LBB4_564:                              ;   in Loop: Header=BB4_523 Depth=1
	s_andn2_saveexec_b64 s[20:21], s[20:21]
	s_cbranch_execz .LBB4_566
; %bb.565:                              ;   in Loop: Header=BB4_523 Depth=1
	s_waitcnt vmcnt(0) lgkmcnt(0)
	buffer_wbinvl1_vol
	s_barrier
.LBB4_566:                              ;   in Loop: Header=BB4_523 Depth=1
	s_or_b64 exec, exec, s[20:21]
.LBB4_567:                              ;   in Loop: Header=BB4_523 Depth=1
	s_or_b64 exec, exec, s[18:19]
	s_trap 2
	ds_read_b32 v0, v0
	v_and_b32_e32 v1, 0x4000, v62
	v_cmp_ne_u32_e32 vcc, 0, v1
	s_and_b64 s[20:21], s[44:45], vcc
	s_and_saveexec_b64 s[18:19], s[20:21]
	s_cbranch_execz .LBB4_586
; %bb.568:                              ;   in Loop: Header=BB4_523 Depth=1
	s_and_saveexec_b64 s[20:21], s[40:41]
	s_xor_b64 s[20:21], exec, s[20:21]
	s_cbranch_execz .LBB4_583
; %bb.569:                              ;   in Loop: Header=BB4_523 Depth=1
	s_and_saveexec_b64 s[58:59], s[12:13]
	s_cbranch_execz .LBB4_582
; %bb.570:                              ;   in Loop: Header=BB4_523 Depth=1
	s_mov_b64 s[62:63], exec
	v_mbcnt_lo_u32_b32 v1, s62, 0
	v_mbcnt_hi_u32_b32 v1, s63, v1
	v_cmp_eq_u32_e32 vcc, 0, v1
	s_waitcnt vmcnt(0) lgkmcnt(0)
	buffer_wbinvl1_vol
	s_and_saveexec_b64 s[60:61], vcc
	s_cbranch_execz .LBB4_572
; %bb.571:                              ;   in Loop: Header=BB4_523 Depth=1
	s_bcnt1_i32_b64 s62, s[62:63]
	v_mov_b32_e32 v10, s62
	ds_add_u64 v0, v[10:11]
	s_trap 2
.LBB4_572:                              ;   in Loop: Header=BB4_523 Depth=1
	s_or_b64 exec, exec, s[60:61]
	s_trap 2
	ds_read_b64 v[1:2], v0
	s_waitcnt lgkmcnt(0)
	v_add_co_u32_e32 v38, vcc, v38, v25
	v_addc_co_u32_e32 v39, vcc, 0, v39, vcc
	v_cmp_lt_u64_e32 vcc, v[1:2], v[38:39]
	s_and_saveexec_b64 s[60:61], vcc
	s_cbranch_execz .LBB4_581
; %bb.573:                              ;   in Loop: Header=BB4_523 Depth=1
	s_mov_b32 s90, 0
	s_mov_b64 s[62:63], 0
                                        ; implicit-def: $sgpr72_sgpr73
                                        ; implicit-def: $sgpr74_sgpr75
	s_branch .LBB4_575
.LBB4_574:                              ;   in Loop: Header=BB4_575 Depth=2
	s_or_b64 exec, exec, s[78:79]
	s_and_b64 s[76:77], exec, s[88:89]
	s_or_b64 s[62:63], s[76:77], s[62:63]
	s_andn2_b64 s[72:73], s[72:73], exec
	s_and_b64 s[76:77], s[74:75], exec
	s_or_b64 s[72:73], s[72:73], s[76:77]
	s_andn2_b64 exec, exec, s[62:63]
	s_cbranch_execz .LBB4_579
.LBB4_575:                              ;   Parent Loop BB4_523 Depth=1
                                        ; =>  This Inner Loop Header: Depth=2
	s_add_i32 s90, s90, 1
	s_cmpk_lg_i32 s90, 0x2710
	s_cselect_b64 s[76:77], -1, 0
	s_and_b64 vcc, exec, s[76:77]
	s_cbranch_vccz .LBB4_577
; %bb.576:                              ;   in Loop: Header=BB4_575 Depth=2
	s_mov_b64 s[88:89], -1
	s_or_b64 s[74:75], s[74:75], exec
	s_and_saveexec_b64 s[78:79], s[76:77]
	s_cbranch_execz .LBB4_574
	s_branch .LBB4_578
.LBB4_577:                              ;   in Loop: Header=BB4_575 Depth=2
	s_trap 2
	ds_read_b64 v[1:2], v0
	s_andn2_b64 s[76:77], s[76:77], exec
	s_mov_b32 s90, 0
	s_waitcnt lgkmcnt(0)
	flat_load_dword v1, v[1:2] glc
	s_waitcnt vmcnt(0) lgkmcnt(0)
	buffer_wbinvl1_vol
	v_cmp_eq_u32_e32 vcc, 0, v1
	s_and_b64 s[78:79], vcc, exec
	s_or_b64 s[76:77], s[76:77], s[78:79]
	s_mov_b64 s[88:89], -1
	s_or_b64 s[74:75], s[74:75], exec
	s_and_saveexec_b64 s[78:79], s[76:77]
	s_cbranch_execz .LBB4_574
.LBB4_578:                              ;   in Loop: Header=BB4_575 Depth=2
	s_sleep 1
	s_trap 2
	ds_read_b64 v[1:2], v0
	s_waitcnt lgkmcnt(0)
	s_andn2_b64 s[74:75], s[74:75], exec
	v_cmp_ge_u64_e32 vcc, v[1:2], v[38:39]
	s_orn2_b64 s[88:89], vcc, exec
	s_branch .LBB4_574
.LBB4_579:                              ;   in Loop: Header=BB4_523 Depth=1
	s_or_b64 exec, exec, s[62:63]
	s_and_saveexec_b64 s[62:63], s[72:73]
	s_xor_b64 s[62:63], exec, s[62:63]
	s_cbranch_execz .LBB4_581
; %bb.580:                              ;   in Loop: Header=BB4_523 Depth=1
	v_mov_b32_e32 v1, 1
	ds_write_b32 v0, v1
	s_trap 2
.LBB4_581:                              ;   in Loop: Header=BB4_523 Depth=1
	s_or_b64 exec, exec, s[60:61]
	;;#ASMSTART
	s_wakeup
	;;#ASMEND
.LBB4_582:                              ;   in Loop: Header=BB4_523 Depth=1
	s_or_b64 exec, exec, s[58:59]
.LBB4_583:                              ;   in Loop: Header=BB4_523 Depth=1
	s_andn2_saveexec_b64 s[20:21], s[20:21]
	s_cbranch_execz .LBB4_585
; %bb.584:                              ;   in Loop: Header=BB4_523 Depth=1
	s_waitcnt vmcnt(0) lgkmcnt(0)
	buffer_wbinvl1_vol
	s_barrier
.LBB4_585:                              ;   in Loop: Header=BB4_523 Depth=1
	s_or_b64 exec, exec, s[20:21]
.LBB4_586:                              ;   in Loop: Header=BB4_523 Depth=1
	s_or_b64 exec, exec, s[18:19]
	s_trap 2
	s_waitcnt lgkmcnt(0)
	ds_read_b64 v[15:16], v0
	v_min_u32_e32 v58, v58, v14
	s_waitcnt lgkmcnt(0)
	v_cmp_eq_u64_e32 vcc, 0, v[15:16]
	s_cbranch_vccnz .LBB4_594
; %bb.587:                              ;   in Loop: Header=BB4_523 Depth=1
	s_trap 2
	ds_read_b64 v[17:18], v0
	s_waitcnt lgkmcnt(0)
	v_cmp_eq_u64_e32 vcc, 0, v[17:18]
	s_cbranch_vccnz .LBB4_594
; %bb.588:                              ;   in Loop: Header=BB4_523 Depth=1
	s_mov_b64 s[20:21], -1
	s_and_saveexec_b64 s[18:19], s[14:15]
	s_cbranch_execz .LBB4_590
; %bb.589:                              ;   in Loop: Header=BB4_523 Depth=1
	ds_read_b32 v1, v0 offset:720
	s_waitcnt lgkmcnt(0)
	v_and_b32_e32 v1, 15, v1
	v_cmp_eq_u32_e32 vcc, 0, v1
	s_orn2_b64 s[20:21], vcc, exec
.LBB4_590:                              ;   in Loop: Header=BB4_523 Depth=1
	s_or_b64 exec, exec, s[18:19]
	s_and_saveexec_b64 s[18:19], s[16:17]
	s_cbranch_execz .LBB4_592
; %bb.591:                              ;   in Loop: Header=BB4_523 Depth=1
	ds_read_b32 v1, v0 offset:784
	s_waitcnt lgkmcnt(0)
	v_and_b32_e32 v1, 15, v1
	v_cmp_eq_u32_e32 vcc, 0, v1
	s_and_b64 s[58:59], s[20:21], vcc
	s_andn2_b64 s[20:21], s[20:21], exec
	s_and_b64 s[58:59], s[58:59], exec
	s_or_b64 s[20:21], s[20:21], s[58:59]
.LBB4_592:                              ;   in Loop: Header=BB4_523 Depth=1
	s_or_b64 exec, exec, s[18:19]
	s_xor_b64 s[20:21], s[20:21], -1
	v_cmp_eq_u32_e64 s[18:19], 0, v0
	v_cndmask_b32_e64 v0, 0, 1, s[20:21]
	s_mov_b64 s[60:61], -1
	v_cmp_ne_u32_e32 vcc, 0, v0
	s_cbranch_vccz .LBB4_595
; %bb.593:                              ;   in Loop: Header=BB4_523 Depth=1
	s_mov_b64 s[60:61], 0
	s_mov_b64 s[58:59], -1
	s_branch .LBB4_596
.LBB4_594:                              ;   in Loop: Header=BB4_523 Depth=1
	s_mov_b64 s[18:19], 0
	s_and_saveexec_b64 s[20:21], s[10:11]
	s_cbranch_execnz .LBB4_909
	s_branch .LBB4_927
.LBB4_595:                              ;   in Loop: Header=BB4_523 Depth=1
	s_mov_b64 s[58:59], 0
.LBB4_596:                              ;   in Loop: Header=BB4_523 Depth=1
	v_cndmask_b32_e64 v0, 0, v58, s[18:19]
	v_lshlrev_b32_e32 v1, 1, v0
	s_andn2_b64 vcc, exec, s[60:61]
	v_mov_b32_e32 v30, 0
	buffer_store_dword v0, off, s[0:3], s33 offset:172 ; 4-byte Folded Spill
	s_cbranch_vccnz .LBB4_673
; %bb.597:                              ;   in Loop: Header=BB4_523 Depth=1
	buffer_load_dword v21, off, s[0:3], s33 offset:184 ; 4-byte Folded Reload
	s_trap 2
	buffer_load_dword v2, off, s[0:3], s33 offset:208 ; 4-byte Folded Reload
	v_lshrrev_b32_e32 v0, 9, v0
	v_lshlrev_b32_e32 v10, 10, v0
	v_sub_u32_e32 v23, v1, v10
	v_cmp_lt_i32_e64 s[18:19], 15, v23
	ds_read_b64 v[19:20], v0
	s_mov_b64 s[62:63], 0
	s_waitcnt vmcnt(0)
	v_sub_u32_e32 v3, v1, v21
	s_waitcnt vmcnt(0)
	v_addc_co_u32_e64 v24, vcc, v0, v2, s[18:19]
	buffer_load_dword v0, off, s[0:3], s33 offset:204 ; 4-byte Folded Reload
	v_add_co_u32_e32 v21, vcc, v17, v21
	s_waitcnt vmcnt(0)
	v_addc_co_u32_e32 v22, vcc, v18, v0, vcc
	v_cmp_lt_i32_e32 vcc, 15, v3
	s_and_saveexec_b64 s[60:61], vcc
	s_cbranch_execz .LBB4_675
; %bb.598:                              ;   in Loop: Header=BB4_523 Depth=1
	buffer_load_dword v0, off, s[0:3], s33 offset:184 ; 4-byte Folded Reload
	buffer_load_dword v2, off, s[0:3], s33 offset:204 ; 4-byte Folded Reload
	s_mov_b64 s[74:75], 0
                                        ; implicit-def: $sgpr72_sgpr73
	s_waitcnt vmcnt(1)
	v_add_co_u32_e32 v26, vcc, v15, v0
	s_waitcnt vmcnt(0)
	v_addc_co_u32_e32 v27, vcc, v16, v2, vcc
	s_waitcnt lgkmcnt(0)
	v_add_co_u32_e32 v30, vcc, v19, v0
	v_addc_co_u32_e32 v34, vcc, v20, v2, vcc
	s_branch .LBB4_600
.LBB4_599:                              ;   in Loop: Header=BB4_600 Depth=2
	s_or_b64 exec, exec, s[20:21]
	v_cmp_gt_i32_e32 vcc, 16, v3
	s_or_b64 s[62:63], vcc, s[62:63]
	s_andn2_b64 s[20:21], s[72:73], exec
	s_and_b64 s[72:73], s[74:75], exec
	s_or_b64 s[72:73], s[20:21], s[72:73]
	s_andn2_b64 exec, exec, s[62:63]
	s_cbranch_execz .LBB4_674
.LBB4_600:                              ;   Parent Loop BB4_523 Depth=1
                                        ; =>  This Loop Header: Depth=2
                                        ;       Child Loop BB4_601 Depth 3
                                        ;       Child Loop BB4_638 Depth 3
	s_lshr_b32 s88, s33, 6
	s_add_i32 s88, s88, 64
	s_mov_b64 s[76:77], -1
	s_mov_b64 s[78:79], 0
.LBB4_601:                              ;   Parent Loop BB4_523 Depth=1
                                        ;     Parent Loop BB4_600 Depth=2
                                        ; =>    This Inner Loop Header: Depth=3
	s_cmp_eq_u32 s78, 1
	s_cselect_b64 s[20:21], -1, 0
	v_cndmask_b32_e64 v29, v27, v34, s[20:21]
	v_cndmask_b32_e64 v28, v26, v30, s[20:21]
	global_load_dwordx4 v[54:57], v[28:29], off glc slc
	v_mov_b32_e32 v0, s88
	s_cmp_eq_u32 s78, 0
	s_mov_b64 s[78:79], 1
	s_mov_b32 s88, s31
	s_waitcnt vmcnt(0)
	buffer_store_dword v55, v0, s[0:3], 0 offen offset:4
	buffer_store_dword v54, v0, s[0:3], 0 offen
	buffer_store_dword v57, v0, s[0:3], 0 offen offset:12
	buffer_store_dword v56, v0, s[0:3], 0 offen offset:8
	v_add_co_u32_e32 v0, vcc, s34, v28
	v_addc_co_u32_e32 v2, vcc, 0, v29, vcc
	s_cselect_b64 vcc, -1, 0
	v_cndmask_b32_e32 v27, v27, v2, vcc
	v_cndmask_b32_e32 v26, v26, v0, vcc
	v_cndmask_b32_e64 v34, v34, v2, s[20:21]
	v_cndmask_b32_e64 v30, v30, v0, s[20:21]
	s_and_b64 vcc, exec, s[76:77]
	s_mov_b64 s[76:77], 0
	s_cbranch_vccnz .LBB4_601
; %bb.602:                              ;   in Loop: Header=BB4_600 Depth=2
	s_and_saveexec_b64 s[20:21], s[74:75]
	s_cbranch_execz .LBB4_636
; %bb.603:                              ;   in Loop: Header=BB4_600 Depth=2
	buffer_load_dword v29, off, s[0:3], s33 offset:96
	buffer_load_dword v54, off, s[0:3], s33 offset:100
	;; [unrolled: 1-line block ×8, first 2 shown]
	s_waitcnt vmcnt(7)
	v_lshlrev_b32_e32 v0, 16, v29
	s_waitcnt vmcnt(4)
	v_lshlrev_b32_e32 v44, 16, v31
	v_add_f32_e32 v44, v0, v44
	v_and_b32_e32 v0, 0x7f800000, v44
	v_cmp_ne_u32_e32 vcc, s37, v0
                                        ; implicit-def: $vgpr0
	s_and_saveexec_b64 s[74:75], vcc
	s_xor_b64 s[74:75], exec, s[74:75]
; %bb.604:                              ;   in Loop: Header=BB4_600 Depth=2
	v_bfe_u32 v0, v44, 16, 1
	v_add3_u32 v0, v44, v0, s38
                                        ; implicit-def: $vgpr44
; %bb.605:                              ;   in Loop: Header=BB4_600 Depth=2
	s_andn2_saveexec_b64 s[74:75], s[74:75]
; %bb.606:                              ;   in Loop: Header=BB4_600 Depth=2
	v_or_b32_e32 v0, 0x10000, v44
	v_cmp_eq_u32_sdwa vcc, v44, v11 src0_sel:WORD_0 src1_sel:DWORD
	v_cndmask_b32_e32 v0, v0, v44, vcc
; %bb.607:                              ;   in Loop: Header=BB4_600 Depth=2
	s_or_b64 exec, exec, s[74:75]
	v_and_b32_e32 v29, 0xffff0000, v29
	v_and_b32_e32 v31, 0xffff0000, v31
	v_add_f32_e32 v31, v29, v31
	v_and_b32_e32 v29, 0x7f800000, v31
	v_cmp_ne_u32_e32 vcc, s37, v29
                                        ; implicit-def: $vgpr29
	s_and_saveexec_b64 s[74:75], vcc
	s_xor_b64 s[74:75], exec, s[74:75]
; %bb.608:                              ;   in Loop: Header=BB4_600 Depth=2
	v_bfe_u32 v29, v31, 16, 1
	v_add3_u32 v29, v31, v29, s38
                                        ; implicit-def: $vgpr31
; %bb.609:                              ;   in Loop: Header=BB4_600 Depth=2
	s_andn2_saveexec_b64 s[74:75], s[74:75]
; %bb.610:                              ;   in Loop: Header=BB4_600 Depth=2
	v_or_b32_e32 v29, 0x10000, v31
	v_cmp_eq_u32_sdwa vcc, v31, v11 src0_sel:WORD_0 src1_sel:DWORD
	v_cndmask_b32_e32 v29, v29, v31, vcc
; %bb.611:                              ;   in Loop: Header=BB4_600 Depth=2
	s_or_b64 exec, exec, s[74:75]
	v_lshlrev_b32_e32 v31, 16, v54
	s_waitcnt vmcnt(3)
	v_lshlrev_b32_e32 v44, 16, v55
	v_add_f32_e32 v44, v31, v44
	v_and_b32_e32 v31, 0x7f800000, v44
	v_cmp_ne_u32_e32 vcc, s37, v31
                                        ; implicit-def: $vgpr31
	s_and_saveexec_b64 s[74:75], vcc
	s_xor_b64 s[74:75], exec, s[74:75]
; %bb.612:                              ;   in Loop: Header=BB4_600 Depth=2
	v_bfe_u32 v31, v44, 16, 1
	v_add3_u32 v31, v44, v31, s38
                                        ; implicit-def: $vgpr44
; %bb.613:                              ;   in Loop: Header=BB4_600 Depth=2
	s_andn2_saveexec_b64 s[74:75], s[74:75]
; %bb.614:                              ;   in Loop: Header=BB4_600 Depth=2
	v_or_b32_e32 v31, 0x10000, v44
	v_cmp_eq_u32_sdwa vcc, v44, v11 src0_sel:WORD_0 src1_sel:DWORD
	v_cndmask_b32_e32 v31, v31, v44, vcc
; %bb.615:                              ;   in Loop: Header=BB4_600 Depth=2
	s_or_b64 exec, exec, s[74:75]
	v_and_b32_e32 v54, 0xffff0000, v54
	v_and_b32_e32 v55, 0xffff0000, v55
	v_add_f32_e32 v55, v54, v55
	v_and_b32_e32 v54, 0x7f800000, v55
	v_cmp_ne_u32_e32 vcc, s37, v54
                                        ; implicit-def: $vgpr54
	s_and_saveexec_b64 s[74:75], vcc
	s_xor_b64 s[74:75], exec, s[74:75]
; %bb.616:                              ;   in Loop: Header=BB4_600 Depth=2
	v_bfe_u32 v54, v55, 16, 1
	v_add3_u32 v54, v55, v54, s38
                                        ; implicit-def: $vgpr55
; %bb.617:                              ;   in Loop: Header=BB4_600 Depth=2
	s_andn2_saveexec_b64 s[74:75], s[74:75]
; %bb.618:                              ;   in Loop: Header=BB4_600 Depth=2
	v_or_b32_e32 v54, 0x10000, v55
	v_cmp_eq_u32_sdwa vcc, v55, v11 src0_sel:WORD_0 src1_sel:DWORD
	v_cndmask_b32_e32 v54, v54, v55, vcc
; %bb.619:                              ;   in Loop: Header=BB4_600 Depth=2
	s_or_b64 exec, exec, s[74:75]
	v_lshlrev_b32_e32 v55, 16, v35
	s_waitcnt vmcnt(2)
	v_lshlrev_b32_e32 v44, 16, v50
	v_add_f32_e32 v44, v55, v44
	v_and_b32_e32 v55, 0x7f800000, v44
	v_cmp_ne_u32_e32 vcc, s37, v55
                                        ; implicit-def: $vgpr55
	s_and_saveexec_b64 s[74:75], vcc
	s_xor_b64 s[74:75], exec, s[74:75]
; %bb.620:                              ;   in Loop: Header=BB4_600 Depth=2
	v_bfe_u32 v55, v44, 16, 1
	v_add3_u32 v55, v44, v55, s38
                                        ; implicit-def: $vgpr44
; %bb.621:                              ;   in Loop: Header=BB4_600 Depth=2
	s_andn2_saveexec_b64 s[74:75], s[74:75]
; %bb.622:                              ;   in Loop: Header=BB4_600 Depth=2
	v_or_b32_e32 v55, 0x10000, v44
	v_cmp_eq_u32_sdwa vcc, v44, v11 src0_sel:WORD_0 src1_sel:DWORD
	v_cndmask_b32_e32 v55, v55, v44, vcc
; %bb.623:                              ;   in Loop: Header=BB4_600 Depth=2
	s_or_b64 exec, exec, s[74:75]
	v_and_b32_e32 v35, 0xffff0000, v35
	v_and_b32_e32 v50, 0xffff0000, v50
	v_add_f32_e32 v50, v35, v50
	v_and_b32_e32 v35, 0x7f800000, v50
	v_cmp_ne_u32_e32 vcc, s37, v35
                                        ; implicit-def: $vgpr35
	s_and_saveexec_b64 s[74:75], vcc
	s_xor_b64 s[74:75], exec, s[74:75]
; %bb.624:                              ;   in Loop: Header=BB4_600 Depth=2
	v_bfe_u32 v35, v50, 16, 1
	v_add3_u32 v35, v50, v35, s38
                                        ; implicit-def: $vgpr50
; %bb.625:                              ;   in Loop: Header=BB4_600 Depth=2
	s_andn2_saveexec_b64 s[74:75], s[74:75]
; %bb.626:                              ;   in Loop: Header=BB4_600 Depth=2
	v_or_b32_e32 v35, 0x10000, v50
	v_cmp_eq_u32_sdwa vcc, v50, v11 src0_sel:WORD_0 src1_sel:DWORD
	v_cndmask_b32_e32 v35, v35, v50, vcc
; %bb.627:                              ;   in Loop: Header=BB4_600 Depth=2
	s_or_b64 exec, exec, s[74:75]
	s_waitcnt vmcnt(0)
	v_lshlrev_b32_e32 v50, 16, v28
	v_lshlrev_b32_e32 v44, 16, v2
	v_add_f32_e32 v44, v50, v44
	v_and_b32_e32 v50, 0x7f800000, v44
	v_cmp_ne_u32_e32 vcc, s37, v50
                                        ; implicit-def: $vgpr50
	s_and_saveexec_b64 s[74:75], vcc
	s_xor_b64 s[74:75], exec, s[74:75]
; %bb.628:                              ;   in Loop: Header=BB4_600 Depth=2
	v_bfe_u32 v50, v44, 16, 1
	v_add3_u32 v50, v44, v50, s38
                                        ; implicit-def: $vgpr44
; %bb.629:                              ;   in Loop: Header=BB4_600 Depth=2
	s_andn2_saveexec_b64 s[74:75], s[74:75]
; %bb.630:                              ;   in Loop: Header=BB4_600 Depth=2
	v_or_b32_e32 v50, 0x10000, v44
	v_cmp_eq_u32_sdwa vcc, v44, v11 src0_sel:WORD_0 src1_sel:DWORD
	v_cndmask_b32_e32 v50, v50, v44, vcc
; %bb.631:                              ;   in Loop: Header=BB4_600 Depth=2
	s_or_b64 exec, exec, s[74:75]
	v_and_b32_e32 v28, 0xffff0000, v28
	v_and_b32_e32 v2, 0xffff0000, v2
	v_add_f32_e32 v28, v28, v2
	v_and_b32_e32 v2, 0x7f800000, v28
	v_cmp_ne_u32_e32 vcc, s37, v2
                                        ; implicit-def: $vgpr2
	s_and_saveexec_b64 s[74:75], vcc
	s_xor_b64 s[74:75], exec, s[74:75]
; %bb.632:                              ;   in Loop: Header=BB4_600 Depth=2
	v_bfe_u32 v2, v28, 16, 1
	v_add3_u32 v2, v28, v2, s38
                                        ; implicit-def: $vgpr28
; %bb.633:                              ;   in Loop: Header=BB4_600 Depth=2
	s_andn2_saveexec_b64 s[74:75], s[74:75]
; %bb.634:                              ;   in Loop: Header=BB4_600 Depth=2
	v_or_b32_e32 v2, 0x10000, v28
	v_cmp_eq_u32_sdwa vcc, v28, v11 src0_sel:WORD_0 src1_sel:DWORD
	v_cndmask_b32_e32 v2, v2, v28, vcc
; %bb.635:                              ;   in Loop: Header=BB4_600 Depth=2
	s_or_b64 exec, exec, s[74:75]
	v_lshrrev_b32_e32 v0, 16, v0
	v_lshrrev_b32_e32 v28, 16, v31
	v_and_or_b32 v44, v29, s39, v0
	v_lshrrev_b32_e32 v0, 16, v55
	v_and_or_b32 v45, v54, s39, v28
	v_and_or_b32 v46, v35, s39, v0
	v_lshrrev_b32_e32 v0, 16, v50
	v_and_or_b32 v47, v2, s39, v0
	buffer_store_dword v45, off, s[0:3], s33 offset:100
	buffer_store_dword v44, off, s[0:3], s33 offset:96
	buffer_store_dword v47, off, s[0:3], s33 offset:108
	buffer_store_dword v46, off, s[0:3], s33 offset:104
	buffer_load_dword v0, off, s[0:3], s33 offset:136 ; 4-byte Folded Reload
	s_nop 0
	global_store_dwordx4 v[21:22], v[44:47], off glc slc
	s_waitcnt vmcnt(1)
	v_add_co_u32_e32 v21, vcc, v0, v21
	buffer_load_dword v0, off, s[0:3], s33 offset:152 ; 4-byte Folded Reload
	s_waitcnt vmcnt(0)
	v_addc_co_u32_e32 v22, vcc, v0, v22, vcc
.LBB4_636:                              ;   in Loop: Header=BB4_600 Depth=2
	s_or_b64 exec, exec, s[20:21]
	v_add_co_u32_e32 v26, vcc, v26, v52
	v_addc_co_u32_e32 v27, vcc, v27, v53, vcc
	v_add_co_u32_e32 v30, vcc, v30, v52
	v_sub_u32_e32 v3, v3, v51
	v_addc_co_u32_e32 v34, vcc, v34, v53, vcc
	v_cmp_lt_i32_e64 s[74:75], 15, v3
	s_and_saveexec_b64 s[76:77], s[74:75]
	s_cbranch_execz .LBB4_639
; %bb.637:                              ;   in Loop: Header=BB4_600 Depth=2
	s_lshr_b32 s90, s33, 6
	s_addk_i32 s90, 0x60
	s_mov_b64 s[88:89], 0
	s_mov_b64 s[78:79], -1
.LBB4_638:                              ;   Parent Loop BB4_523 Depth=1
                                        ;     Parent Loop BB4_600 Depth=2
                                        ; =>    This Inner Loop Header: Depth=3
	s_cmp_eq_u32 s88, 1
	s_cselect_b64 s[20:21], -1, 0
	v_cndmask_b32_e64 v29, v27, v34, s[20:21]
	v_cndmask_b32_e64 v28, v26, v30, s[20:21]
	global_load_dwordx4 v[44:47], v[28:29], off glc slc
	v_mov_b32_e32 v0, s90
	s_cmp_eq_u32 s88, 0
	s_mov_b64 s[88:89], 1
	s_mov_b32 s90, s95
	s_waitcnt vmcnt(0)
	buffer_store_dword v45, v0, s[0:3], 0 offen offset:4
	buffer_store_dword v44, v0, s[0:3], 0 offen
	buffer_store_dword v47, v0, s[0:3], 0 offen offset:12
	buffer_store_dword v46, v0, s[0:3], 0 offen offset:8
	v_add_co_u32_e32 v0, vcc, s34, v28
	v_addc_co_u32_e32 v2, vcc, 0, v29, vcc
	s_cselect_b64 vcc, -1, 0
	v_cndmask_b32_e32 v27, v27, v2, vcc
	v_cndmask_b32_e32 v26, v26, v0, vcc
	v_cndmask_b32_e64 v34, v34, v2, s[20:21]
	v_cndmask_b32_e64 v30, v30, v0, s[20:21]
	s_and_b64 vcc, exec, s[78:79]
	s_mov_b64 s[78:79], 0
	s_cbranch_vccnz .LBB4_638
.LBB4_639:                              ;   in Loop: Header=BB4_600 Depth=2
	s_or_b64 exec, exec, s[76:77]
	buffer_load_dword v29, off, s[0:3], s33 offset:64
	buffer_load_dword v54, off, s[0:3], s33 offset:68
	;; [unrolled: 1-line block ×8, first 2 shown]
	s_waitcnt vmcnt(7)
	v_lshlrev_b32_e32 v0, 16, v29
	s_waitcnt vmcnt(4)
	v_lshlrev_b32_e32 v44, 16, v31
	v_add_f32_e32 v44, v0, v44
	v_and_b32_e32 v0, 0x7f800000, v44
	v_cmp_ne_u32_e32 vcc, s37, v0
                                        ; implicit-def: $vgpr0
	s_and_saveexec_b64 s[20:21], vcc
	s_xor_b64 s[20:21], exec, s[20:21]
; %bb.640:                              ;   in Loop: Header=BB4_600 Depth=2
	v_bfe_u32 v0, v44, 16, 1
	v_add3_u32 v0, v44, v0, s38
                                        ; implicit-def: $vgpr44
; %bb.641:                              ;   in Loop: Header=BB4_600 Depth=2
	s_andn2_saveexec_b64 s[20:21], s[20:21]
; %bb.642:                              ;   in Loop: Header=BB4_600 Depth=2
	v_or_b32_e32 v0, 0x10000, v44
	v_cmp_eq_u32_sdwa vcc, v44, v11 src0_sel:WORD_0 src1_sel:DWORD
	v_cndmask_b32_e32 v0, v0, v44, vcc
; %bb.643:                              ;   in Loop: Header=BB4_600 Depth=2
	s_or_b64 exec, exec, s[20:21]
	v_and_b32_e32 v29, 0xffff0000, v29
	v_and_b32_e32 v31, 0xffff0000, v31
	v_add_f32_e32 v31, v29, v31
	v_and_b32_e32 v29, 0x7f800000, v31
	v_cmp_ne_u32_e32 vcc, s37, v29
                                        ; implicit-def: $vgpr29
	s_and_saveexec_b64 s[20:21], vcc
	s_xor_b64 s[20:21], exec, s[20:21]
; %bb.644:                              ;   in Loop: Header=BB4_600 Depth=2
	v_bfe_u32 v29, v31, 16, 1
	v_add3_u32 v29, v31, v29, s38
                                        ; implicit-def: $vgpr31
; %bb.645:                              ;   in Loop: Header=BB4_600 Depth=2
	s_andn2_saveexec_b64 s[20:21], s[20:21]
; %bb.646:                              ;   in Loop: Header=BB4_600 Depth=2
	v_or_b32_e32 v29, 0x10000, v31
	v_cmp_eq_u32_sdwa vcc, v31, v11 src0_sel:WORD_0 src1_sel:DWORD
	v_cndmask_b32_e32 v29, v29, v31, vcc
; %bb.647:                              ;   in Loop: Header=BB4_600 Depth=2
	s_or_b64 exec, exec, s[20:21]
	v_lshlrev_b32_e32 v31, 16, v54
	s_waitcnt vmcnt(3)
	v_lshlrev_b32_e32 v44, 16, v55
	v_add_f32_e32 v44, v31, v44
	v_and_b32_e32 v31, 0x7f800000, v44
	v_cmp_ne_u32_e32 vcc, s37, v31
                                        ; implicit-def: $vgpr31
	s_and_saveexec_b64 s[20:21], vcc
	s_xor_b64 s[20:21], exec, s[20:21]
; %bb.648:                              ;   in Loop: Header=BB4_600 Depth=2
	v_bfe_u32 v31, v44, 16, 1
	v_add3_u32 v31, v44, v31, s38
                                        ; implicit-def: $vgpr44
; %bb.649:                              ;   in Loop: Header=BB4_600 Depth=2
	s_andn2_saveexec_b64 s[20:21], s[20:21]
; %bb.650:                              ;   in Loop: Header=BB4_600 Depth=2
	v_or_b32_e32 v31, 0x10000, v44
	v_cmp_eq_u32_sdwa vcc, v44, v11 src0_sel:WORD_0 src1_sel:DWORD
	v_cndmask_b32_e32 v31, v31, v44, vcc
; %bb.651:                              ;   in Loop: Header=BB4_600 Depth=2
	s_or_b64 exec, exec, s[20:21]
	v_and_b32_e32 v54, 0xffff0000, v54
	v_and_b32_e32 v55, 0xffff0000, v55
	v_add_f32_e32 v55, v54, v55
	v_and_b32_e32 v54, 0x7f800000, v55
	v_cmp_ne_u32_e32 vcc, s37, v54
                                        ; implicit-def: $vgpr54
	s_and_saveexec_b64 s[20:21], vcc
	s_xor_b64 s[20:21], exec, s[20:21]
; %bb.652:                              ;   in Loop: Header=BB4_600 Depth=2
	v_bfe_u32 v54, v55, 16, 1
	v_add3_u32 v54, v55, v54, s38
                                        ; implicit-def: $vgpr55
; %bb.653:                              ;   in Loop: Header=BB4_600 Depth=2
	s_andn2_saveexec_b64 s[20:21], s[20:21]
; %bb.654:                              ;   in Loop: Header=BB4_600 Depth=2
	v_or_b32_e32 v54, 0x10000, v55
	v_cmp_eq_u32_sdwa vcc, v55, v11 src0_sel:WORD_0 src1_sel:DWORD
	v_cndmask_b32_e32 v54, v54, v55, vcc
; %bb.655:                              ;   in Loop: Header=BB4_600 Depth=2
	s_or_b64 exec, exec, s[20:21]
	v_lshlrev_b32_e32 v55, 16, v35
	s_waitcnt vmcnt(2)
	v_lshlrev_b32_e32 v44, 16, v50
	v_add_f32_e32 v44, v55, v44
	v_and_b32_e32 v55, 0x7f800000, v44
	v_cmp_ne_u32_e32 vcc, s37, v55
                                        ; implicit-def: $vgpr55
	s_and_saveexec_b64 s[20:21], vcc
	s_xor_b64 s[20:21], exec, s[20:21]
; %bb.656:                              ;   in Loop: Header=BB4_600 Depth=2
	v_bfe_u32 v55, v44, 16, 1
	v_add3_u32 v55, v44, v55, s38
                                        ; implicit-def: $vgpr44
; %bb.657:                              ;   in Loop: Header=BB4_600 Depth=2
	s_andn2_saveexec_b64 s[20:21], s[20:21]
; %bb.658:                              ;   in Loop: Header=BB4_600 Depth=2
	v_or_b32_e32 v55, 0x10000, v44
	v_cmp_eq_u32_sdwa vcc, v44, v11 src0_sel:WORD_0 src1_sel:DWORD
	v_cndmask_b32_e32 v55, v55, v44, vcc
; %bb.659:                              ;   in Loop: Header=BB4_600 Depth=2
	s_or_b64 exec, exec, s[20:21]
	v_and_b32_e32 v35, 0xffff0000, v35
	v_and_b32_e32 v50, 0xffff0000, v50
	v_add_f32_e32 v50, v35, v50
	v_and_b32_e32 v35, 0x7f800000, v50
	v_cmp_ne_u32_e32 vcc, s37, v35
                                        ; implicit-def: $vgpr35
	s_and_saveexec_b64 s[20:21], vcc
	s_xor_b64 s[20:21], exec, s[20:21]
; %bb.660:                              ;   in Loop: Header=BB4_600 Depth=2
	v_bfe_u32 v35, v50, 16, 1
	v_add3_u32 v35, v50, v35, s38
                                        ; implicit-def: $vgpr50
; %bb.661:                              ;   in Loop: Header=BB4_600 Depth=2
	s_andn2_saveexec_b64 s[20:21], s[20:21]
; %bb.662:                              ;   in Loop: Header=BB4_600 Depth=2
	v_or_b32_e32 v35, 0x10000, v50
	v_cmp_eq_u32_sdwa vcc, v50, v11 src0_sel:WORD_0 src1_sel:DWORD
	v_cndmask_b32_e32 v35, v35, v50, vcc
; %bb.663:                              ;   in Loop: Header=BB4_600 Depth=2
	s_or_b64 exec, exec, s[20:21]
	s_waitcnt vmcnt(0)
	v_lshlrev_b32_e32 v50, 16, v28
	v_lshlrev_b32_e32 v44, 16, v2
	v_add_f32_e32 v44, v50, v44
	v_and_b32_e32 v50, 0x7f800000, v44
	v_cmp_ne_u32_e32 vcc, s37, v50
                                        ; implicit-def: $vgpr50
	s_and_saveexec_b64 s[20:21], vcc
	s_xor_b64 s[20:21], exec, s[20:21]
; %bb.664:                              ;   in Loop: Header=BB4_600 Depth=2
	v_bfe_u32 v50, v44, 16, 1
	v_add3_u32 v50, v44, v50, s38
                                        ; implicit-def: $vgpr44
; %bb.665:                              ;   in Loop: Header=BB4_600 Depth=2
	s_andn2_saveexec_b64 s[20:21], s[20:21]
; %bb.666:                              ;   in Loop: Header=BB4_600 Depth=2
	v_or_b32_e32 v50, 0x10000, v44
	v_cmp_eq_u32_sdwa vcc, v44, v11 src0_sel:WORD_0 src1_sel:DWORD
	v_cndmask_b32_e32 v50, v50, v44, vcc
; %bb.667:                              ;   in Loop: Header=BB4_600 Depth=2
	s_or_b64 exec, exec, s[20:21]
	v_and_b32_e32 v28, 0xffff0000, v28
	v_and_b32_e32 v2, 0xffff0000, v2
	v_add_f32_e32 v28, v28, v2
	v_and_b32_e32 v2, 0x7f800000, v28
	v_cmp_ne_u32_e32 vcc, s37, v2
                                        ; implicit-def: $vgpr2
	s_and_saveexec_b64 s[20:21], vcc
	s_xor_b64 s[20:21], exec, s[20:21]
; %bb.668:                              ;   in Loop: Header=BB4_600 Depth=2
	v_bfe_u32 v2, v28, 16, 1
	v_add3_u32 v2, v28, v2, s38
                                        ; implicit-def: $vgpr28
; %bb.669:                              ;   in Loop: Header=BB4_600 Depth=2
	s_andn2_saveexec_b64 s[20:21], s[20:21]
; %bb.670:                              ;   in Loop: Header=BB4_600 Depth=2
	v_or_b32_e32 v2, 0x10000, v28
	v_cmp_eq_u32_sdwa vcc, v28, v11 src0_sel:WORD_0 src1_sel:DWORD
	v_cndmask_b32_e32 v2, v2, v28, vcc
; %bb.671:                              ;   in Loop: Header=BB4_600 Depth=2
	s_or_b64 exec, exec, s[20:21]
	v_lshrrev_b32_e32 v0, 16, v0
	v_and_or_b32 v44, v29, s39, v0
	v_lshrrev_b32_e32 v0, 16, v55
	v_lshrrev_b32_e32 v28, 16, v31
	v_and_or_b32 v46, v35, s39, v0
	v_lshrrev_b32_e32 v0, 16, v50
	v_and_or_b32 v45, v54, s39, v28
	v_and_or_b32 v47, v2, s39, v0
	buffer_store_dword v45, off, s[0:3], s33 offset:68
	buffer_store_dword v44, off, s[0:3], s33 offset:64
	buffer_store_dword v47, off, s[0:3], s33 offset:76
	buffer_store_dword v46, off, s[0:3], s33 offset:72
	global_store_dwordx4 v[21:22], v[44:47], off glc slc
	v_add_co_u32_e32 v21, vcc, 0x400, v21
	v_sub_u32_e32 v24, v24, v25
	v_addc_co_u32_e32 v22, vcc, 0, v22, vcc
	s_and_saveexec_b64 s[20:21], s[74:75]
	s_cbranch_execz .LBB4_599
; %bb.672:                              ;   in Loop: Header=BB4_600 Depth=2
	v_add_co_u32_e32 v26, vcc, v26, v52
	v_addc_co_u32_e32 v27, vcc, v27, v53, vcc
	v_add_co_u32_e32 v30, vcc, v30, v52
	v_addc_co_u32_e32 v34, vcc, v34, v53, vcc
	;; [unrolled: 2-line block ×3, first 2 shown]
	v_sub_u32_e32 v3, v3, v51
	v_sub_u32_e32 v24, v24, v25
	s_branch .LBB4_599
.LBB4_673:                              ;   in Loop: Header=BB4_523 Depth=1
	buffer_load_dword v0, off, s[0:3], s33 offset:200 ; 4-byte Folded Reload
	buffer_load_dword v34, off, s[0:3], s33 offset:180 ; 4-byte Folded Reload
	s_and_saveexec_b64 s[20:21], s[58:59]
	s_cbranch_execnz .LBB4_825
	s_branch .LBB4_908
.LBB4_674:                              ;   in Loop: Header=BB4_523 Depth=1
	s_or_b64 exec, exec, s[62:63]
	s_and_b64 s[62:63], s[72:73], exec
.LBB4_675:                              ;   in Loop: Header=BB4_523 Depth=1
	s_or_b64 exec, exec, s[60:61]
	s_and_saveexec_b64 s[20:21], s[62:63]
	s_cbranch_execz .LBB4_709
; %bb.676:                              ;   in Loop: Header=BB4_523 Depth=1
	buffer_load_dword v26, off, s[0:3], s33 offset:96
	buffer_load_dword v30, off, s[0:3], s33 offset:100
	;; [unrolled: 1-line block ×8, first 2 shown]
	s_waitcnt vmcnt(7)
	v_lshlrev_b32_e32 v0, 16, v26
	s_waitcnt vmcnt(4)
	v_lshlrev_b32_e32 v34, 16, v27
	v_add_f32_e32 v34, v0, v34
	v_and_b32_e32 v0, 0x7f800000, v34
	v_cmp_ne_u32_e32 vcc, s37, v0
                                        ; implicit-def: $vgpr0
	s_and_saveexec_b64 s[60:61], vcc
	s_xor_b64 s[60:61], exec, s[60:61]
; %bb.677:                              ;   in Loop: Header=BB4_523 Depth=1
	v_bfe_u32 v0, v34, 16, 1
	v_add3_u32 v0, v34, v0, s38
                                        ; implicit-def: $vgpr34
; %bb.678:                              ;   in Loop: Header=BB4_523 Depth=1
	s_andn2_saveexec_b64 s[60:61], s[60:61]
; %bb.679:                              ;   in Loop: Header=BB4_523 Depth=1
	v_or_b32_e32 v0, 0x10000, v34
	v_cmp_eq_u32_sdwa vcc, v34, v11 src0_sel:WORD_0 src1_sel:DWORD
	v_cndmask_b32_e32 v0, v0, v34, vcc
; %bb.680:                              ;   in Loop: Header=BB4_523 Depth=1
	s_or_b64 exec, exec, s[60:61]
	v_and_b32_e32 v26, 0xffff0000, v26
	v_and_b32_e32 v27, 0xffff0000, v27
	v_add_f32_e32 v27, v26, v27
	v_and_b32_e32 v26, 0x7f800000, v27
	v_cmp_ne_u32_e32 vcc, s37, v26
                                        ; implicit-def: $vgpr26
	s_and_saveexec_b64 s[60:61], vcc
	s_xor_b64 s[60:61], exec, s[60:61]
; %bb.681:                              ;   in Loop: Header=BB4_523 Depth=1
	v_bfe_u32 v26, v27, 16, 1
	v_add3_u32 v26, v27, v26, s38
                                        ; implicit-def: $vgpr27
; %bb.682:                              ;   in Loop: Header=BB4_523 Depth=1
	s_andn2_saveexec_b64 s[60:61], s[60:61]
; %bb.683:                              ;   in Loop: Header=BB4_523 Depth=1
	v_or_b32_e32 v26, 0x10000, v27
	v_cmp_eq_u32_sdwa vcc, v27, v11 src0_sel:WORD_0 src1_sel:DWORD
	v_cndmask_b32_e32 v26, v26, v27, vcc
; %bb.684:                              ;   in Loop: Header=BB4_523 Depth=1
	s_or_b64 exec, exec, s[60:61]
	v_lshlrev_b32_e32 v27, 16, v30
	s_waitcnt vmcnt(3)
	v_lshlrev_b32_e32 v34, 16, v31
	v_add_f32_e32 v34, v27, v34
	v_and_b32_e32 v27, 0x7f800000, v34
	v_cmp_ne_u32_e32 vcc, s37, v27
                                        ; implicit-def: $vgpr27
	s_and_saveexec_b64 s[60:61], vcc
	s_xor_b64 s[60:61], exec, s[60:61]
; %bb.685:                              ;   in Loop: Header=BB4_523 Depth=1
	v_bfe_u32 v27, v34, 16, 1
	v_add3_u32 v27, v34, v27, s38
                                        ; implicit-def: $vgpr34
; %bb.686:                              ;   in Loop: Header=BB4_523 Depth=1
	s_andn2_saveexec_b64 s[60:61], s[60:61]
; %bb.687:                              ;   in Loop: Header=BB4_523 Depth=1
	v_or_b32_e32 v27, 0x10000, v34
	v_cmp_eq_u32_sdwa vcc, v34, v11 src0_sel:WORD_0 src1_sel:DWORD
	v_cndmask_b32_e32 v27, v27, v34, vcc
; %bb.688:                              ;   in Loop: Header=BB4_523 Depth=1
	s_or_b64 exec, exec, s[60:61]
	v_and_b32_e32 v30, 0xffff0000, v30
	v_and_b32_e32 v31, 0xffff0000, v31
	v_add_f32_e32 v31, v30, v31
	v_and_b32_e32 v30, 0x7f800000, v31
	v_cmp_ne_u32_e32 vcc, s37, v30
                                        ; implicit-def: $vgpr30
	s_and_saveexec_b64 s[60:61], vcc
	s_xor_b64 s[60:61], exec, s[60:61]
; %bb.689:                              ;   in Loop: Header=BB4_523 Depth=1
	v_bfe_u32 v30, v31, 16, 1
	v_add3_u32 v30, v31, v30, s38
                                        ; implicit-def: $vgpr31
; %bb.690:                              ;   in Loop: Header=BB4_523 Depth=1
	s_andn2_saveexec_b64 s[60:61], s[60:61]
; %bb.691:                              ;   in Loop: Header=BB4_523 Depth=1
	v_or_b32_e32 v30, 0x10000, v31
	v_cmp_eq_u32_sdwa vcc, v31, v11 src0_sel:WORD_0 src1_sel:DWORD
	v_cndmask_b32_e32 v30, v30, v31, vcc
; %bb.692:                              ;   in Loop: Header=BB4_523 Depth=1
	s_or_b64 exec, exec, s[60:61]
	v_lshlrev_b32_e32 v31, 16, v28
	s_waitcnt vmcnt(2)
	v_lshlrev_b32_e32 v34, 16, v29
	v_add_f32_e32 v34, v31, v34
	v_and_b32_e32 v31, 0x7f800000, v34
	v_cmp_ne_u32_e32 vcc, s37, v31
                                        ; implicit-def: $vgpr31
	s_and_saveexec_b64 s[60:61], vcc
	s_xor_b64 s[60:61], exec, s[60:61]
; %bb.693:                              ;   in Loop: Header=BB4_523 Depth=1
	v_bfe_u32 v31, v34, 16, 1
	v_add3_u32 v31, v34, v31, s38
                                        ; implicit-def: $vgpr34
; %bb.694:                              ;   in Loop: Header=BB4_523 Depth=1
	s_andn2_saveexec_b64 s[60:61], s[60:61]
; %bb.695:                              ;   in Loop: Header=BB4_523 Depth=1
	v_or_b32_e32 v31, 0x10000, v34
	v_cmp_eq_u32_sdwa vcc, v34, v11 src0_sel:WORD_0 src1_sel:DWORD
	v_cndmask_b32_e32 v31, v31, v34, vcc
; %bb.696:                              ;   in Loop: Header=BB4_523 Depth=1
	s_or_b64 exec, exec, s[60:61]
	v_and_b32_e32 v28, 0xffff0000, v28
	v_and_b32_e32 v29, 0xffff0000, v29
	v_add_f32_e32 v29, v28, v29
	v_and_b32_e32 v28, 0x7f800000, v29
	v_cmp_ne_u32_e32 vcc, s37, v28
                                        ; implicit-def: $vgpr28
	s_and_saveexec_b64 s[60:61], vcc
	s_xor_b64 s[60:61], exec, s[60:61]
; %bb.697:                              ;   in Loop: Header=BB4_523 Depth=1
	v_bfe_u32 v28, v29, 16, 1
	v_add3_u32 v28, v29, v28, s38
                                        ; implicit-def: $vgpr29
; %bb.698:                              ;   in Loop: Header=BB4_523 Depth=1
	s_andn2_saveexec_b64 s[60:61], s[60:61]
; %bb.699:                              ;   in Loop: Header=BB4_523 Depth=1
	v_or_b32_e32 v28, 0x10000, v29
	v_cmp_eq_u32_sdwa vcc, v29, v11 src0_sel:WORD_0 src1_sel:DWORD
	v_cndmask_b32_e32 v28, v28, v29, vcc
; %bb.700:                              ;   in Loop: Header=BB4_523 Depth=1
	s_or_b64 exec, exec, s[60:61]
	s_waitcnt vmcnt(0)
	v_lshlrev_b32_e32 v29, 16, v3
	v_lshlrev_b32_e32 v34, 16, v2
	v_add_f32_e32 v34, v29, v34
	v_and_b32_e32 v29, 0x7f800000, v34
	v_cmp_ne_u32_e32 vcc, s37, v29
                                        ; implicit-def: $vgpr29
	s_and_saveexec_b64 s[60:61], vcc
	s_xor_b64 s[60:61], exec, s[60:61]
; %bb.701:                              ;   in Loop: Header=BB4_523 Depth=1
	v_bfe_u32 v29, v34, 16, 1
	v_add3_u32 v29, v34, v29, s38
                                        ; implicit-def: $vgpr34
; %bb.702:                              ;   in Loop: Header=BB4_523 Depth=1
	s_andn2_saveexec_b64 s[60:61], s[60:61]
; %bb.703:                              ;   in Loop: Header=BB4_523 Depth=1
	v_or_b32_e32 v29, 0x10000, v34
	v_cmp_eq_u32_sdwa vcc, v34, v11 src0_sel:WORD_0 src1_sel:DWORD
	v_cndmask_b32_e32 v29, v29, v34, vcc
; %bb.704:                              ;   in Loop: Header=BB4_523 Depth=1
	s_or_b64 exec, exec, s[60:61]
	v_and_b32_e32 v3, 0xffff0000, v3
	v_and_b32_e32 v2, 0xffff0000, v2
	v_add_f32_e32 v3, v3, v2
	v_and_b32_e32 v2, 0x7f800000, v3
	v_cmp_ne_u32_e32 vcc, s37, v2
                                        ; implicit-def: $vgpr2
	s_and_saveexec_b64 s[60:61], vcc
	s_xor_b64 s[60:61], exec, s[60:61]
; %bb.705:                              ;   in Loop: Header=BB4_523 Depth=1
	v_bfe_u32 v2, v3, 16, 1
	v_add3_u32 v2, v3, v2, s38
                                        ; implicit-def: $vgpr3
; %bb.706:                              ;   in Loop: Header=BB4_523 Depth=1
	s_andn2_saveexec_b64 s[60:61], s[60:61]
; %bb.707:                              ;   in Loop: Header=BB4_523 Depth=1
	v_or_b32_e32 v2, 0x10000, v3
	v_cmp_eq_u32_sdwa vcc, v3, v11 src0_sel:WORD_0 src1_sel:DWORD
	v_cndmask_b32_e32 v2, v2, v3, vcc
; %bb.708:                              ;   in Loop: Header=BB4_523 Depth=1
	s_or_b64 exec, exec, s[60:61]
	v_lshrrev_b32_e32 v0, 16, v0
	v_and_or_b32 v26, v26, s39, v0
	v_lshrrev_b32_e32 v0, 16, v31
	v_lshrrev_b32_e32 v3, 16, v27
	v_and_or_b32 v28, v28, s39, v0
	v_lshrrev_b32_e32 v0, 16, v29
	v_and_or_b32 v27, v30, s39, v3
	v_and_or_b32 v29, v2, s39, v0
	global_store_dwordx4 v[21:22], v[26:29], off glc slc
.LBB4_709:                              ;   in Loop: Header=BB4_523 Depth=1
	s_or_b64 exec, exec, s[20:21]
	v_and_b32_e32 v2, 14, v1
	v_cndmask_b32_e64 v3, v23, v2, s[18:19]
	v_cmp_ne_u32_e32 vcc, 0, v3
                                        ; implicit-def: $vgpr1
                                        ; implicit-def: $vgpr30
                                        ; implicit-def: $vgpr0
                                        ; implicit-def: $vgpr34
	s_and_saveexec_b64 s[60:61], vcc
	s_cbranch_execz .LBB4_824
; %bb.710:                              ;   in Loop: Header=BB4_523 Depth=1
	buffer_load_dword v1, off, s[0:3], s33 offset:180 ; 4-byte Folded Reload
	v_sub_u32_e32 v0, v23, v2
	v_cndmask_b32_e64 v0, 0, v0, s[18:19]
	v_cmp_lt_i32_e32 vcc, 0, v24
	v_add_u32_e32 v10, v0, v10
	v_cndmask_b32_e32 v0, 0, v25, vcc
	v_sub_u32_e32 v0, v0, v24
	v_ashrrev_i32_e32 v2, 31, v3
	v_lshrrev_b32_e32 v2, 22, v2
	v_add_u32_e32 v2, v3, v2
	v_and_b32_e32 v24, 0xfffffc00, v2
	v_sub_u32_e32 v26, v3, v24
	v_ashrrev_i32_e32 v22, 10, v2
	v_cmp_lt_i32_e64 s[18:19], 15, v26
	v_addc_co_u32_e64 v22, vcc, 0, v22, s[18:19]
	s_mov_b64 s[72:73], 0
	s_waitcnt vmcnt(0)
	v_lshl_add_u32 v0, v0, 6, v1
	v_ashrrev_i32_e32 v1, 31, v0
	v_lshrrev_b32_e32 v1, 26, v1
	v_add_u32_e32 v1, v0, v1
	v_ashrrev_i32_e32 v21, 6, v1
	v_and_b32_e32 v1, 0xffffffc0, v1
	v_sub_u32_e32 v23, v0, v1
	v_lshlrev_b32_e32 v0, 4, v23
	v_lshl_add_u32 v1, v21, 10, v0
	v_add_u32_e32 v0, v1, v10
	v_ashrrev_i32_e32 v2, 31, v0
	v_sub_u32_e32 v27, v22, v21
	v_add_co_u32_e32 v21, vcc, v0, v17
	v_sub_u32_e32 v1, v3, v1
	v_addc_co_u32_e32 v22, vcc, v2, v18, vcc
	v_cmp_lt_i32_e32 vcc, 15, v1
	s_and_saveexec_b64 s[62:63], vcc
	s_cbranch_execz .LBB4_787
; %bb.711:                              ;   in Loop: Header=BB4_523 Depth=1
	v_add_co_u32_e32 v30, vcc, v0, v15
	v_addc_co_u32_e32 v34, vcc, v2, v16, vcc
	s_waitcnt lgkmcnt(0)
	v_add_co_u32_e32 v19, vcc, v0, v19
	v_addc_co_u32_e32 v20, vcc, v2, v20, vcc
	s_mov_b64 s[76:77], 0
                                        ; implicit-def: $sgpr74_sgpr75
	s_branch .LBB4_713
.LBB4_712:                              ;   in Loop: Header=BB4_713 Depth=2
	s_or_b64 exec, exec, s[20:21]
	v_cmp_gt_i32_e32 vcc, 16, v1
	s_or_b64 s[72:73], vcc, s[72:73]
	s_andn2_b64 s[20:21], s[74:75], exec
	s_and_b64 s[74:75], s[76:77], exec
	s_or_b64 s[74:75], s[20:21], s[74:75]
	s_andn2_b64 exec, exec, s[72:73]
	s_cbranch_execz .LBB4_786
.LBB4_713:                              ;   Parent Loop BB4_523 Depth=1
                                        ; =>  This Loop Header: Depth=2
                                        ;       Child Loop BB4_714 Depth 3
                                        ;       Child Loop BB4_751 Depth 3
	s_lshr_b32 s90, s33, 6
	s_add_i32 s90, s90, 64
	s_mov_b64 s[78:79], -1
	s_mov_b64 s[88:89], 0
.LBB4_714:                              ;   Parent Loop BB4_523 Depth=1
                                        ;     Parent Loop BB4_713 Depth=2
                                        ; =>    This Inner Loop Header: Depth=3
	s_cmp_eq_u32 s88, 1
	s_cselect_b64 s[20:21], -1, 0
	v_cndmask_b32_e64 v29, v34, v20, s[20:21]
	v_cndmask_b32_e64 v28, v30, v19, s[20:21]
	global_load_dwordx4 v[44:47], v[28:29], off glc slc
	v_mov_b32_e32 v0, s90
	s_cmp_eq_u32 s88, 0
	s_mov_b64 s[88:89], 1
	s_mov_b32 s90, s36
	s_waitcnt vmcnt(0)
	buffer_store_dword v45, v0, s[0:3], 0 offen offset:4
	buffer_store_dword v44, v0, s[0:3], 0 offen
	buffer_store_dword v47, v0, s[0:3], 0 offen offset:12
	buffer_store_dword v46, v0, s[0:3], 0 offen offset:8
	v_add_co_u32_e32 v0, vcc, s34, v28
	v_addc_co_u32_e32 v2, vcc, 0, v29, vcc
	s_cselect_b64 vcc, -1, 0
	v_cndmask_b32_e32 v34, v34, v2, vcc
	v_cndmask_b32_e32 v30, v30, v0, vcc
	v_cndmask_b32_e64 v20, v20, v2, s[20:21]
	v_cndmask_b32_e64 v19, v19, v0, s[20:21]
	s_and_b64 vcc, exec, s[78:79]
	s_mov_b64 s[78:79], 0
	s_cbranch_vccnz .LBB4_714
; %bb.715:                              ;   in Loop: Header=BB4_713 Depth=2
	s_and_saveexec_b64 s[20:21], s[76:77]
	s_cbranch_execz .LBB4_749
; %bb.716:                              ;   in Loop: Header=BB4_713 Depth=2
	buffer_load_dword v29, off, s[0:3], s33 offset:96
	buffer_load_dword v54, off, s[0:3], s33 offset:100
	;; [unrolled: 1-line block ×8, first 2 shown]
	s_waitcnt vmcnt(7)
	v_lshlrev_b32_e32 v0, 16, v29
	s_waitcnt vmcnt(4)
	v_lshlrev_b32_e32 v44, 16, v31
	v_add_f32_e32 v44, v0, v44
	v_and_b32_e32 v0, 0x7f800000, v44
	v_cmp_ne_u32_e32 vcc, s37, v0
                                        ; implicit-def: $vgpr0
	s_and_saveexec_b64 s[76:77], vcc
	s_xor_b64 s[76:77], exec, s[76:77]
; %bb.717:                              ;   in Loop: Header=BB4_713 Depth=2
	v_bfe_u32 v0, v44, 16, 1
	v_add3_u32 v0, v44, v0, s38
                                        ; implicit-def: $vgpr44
; %bb.718:                              ;   in Loop: Header=BB4_713 Depth=2
	s_andn2_saveexec_b64 s[76:77], s[76:77]
; %bb.719:                              ;   in Loop: Header=BB4_713 Depth=2
	v_or_b32_e32 v0, 0x10000, v44
	v_cmp_eq_u32_sdwa vcc, v44, v11 src0_sel:WORD_0 src1_sel:DWORD
	v_cndmask_b32_e32 v0, v0, v44, vcc
; %bb.720:                              ;   in Loop: Header=BB4_713 Depth=2
	s_or_b64 exec, exec, s[76:77]
	v_and_b32_e32 v29, 0xffff0000, v29
	v_and_b32_e32 v31, 0xffff0000, v31
	v_add_f32_e32 v31, v29, v31
	v_and_b32_e32 v29, 0x7f800000, v31
	v_cmp_ne_u32_e32 vcc, s37, v29
                                        ; implicit-def: $vgpr29
	s_and_saveexec_b64 s[76:77], vcc
	s_xor_b64 s[76:77], exec, s[76:77]
; %bb.721:                              ;   in Loop: Header=BB4_713 Depth=2
	v_bfe_u32 v29, v31, 16, 1
	v_add3_u32 v29, v31, v29, s38
                                        ; implicit-def: $vgpr31
; %bb.722:                              ;   in Loop: Header=BB4_713 Depth=2
	s_andn2_saveexec_b64 s[76:77], s[76:77]
; %bb.723:                              ;   in Loop: Header=BB4_713 Depth=2
	v_or_b32_e32 v29, 0x10000, v31
	v_cmp_eq_u32_sdwa vcc, v31, v11 src0_sel:WORD_0 src1_sel:DWORD
	v_cndmask_b32_e32 v29, v29, v31, vcc
; %bb.724:                              ;   in Loop: Header=BB4_713 Depth=2
	s_or_b64 exec, exec, s[76:77]
	v_lshlrev_b32_e32 v31, 16, v54
	s_waitcnt vmcnt(3)
	v_lshlrev_b32_e32 v44, 16, v55
	v_add_f32_e32 v44, v31, v44
	v_and_b32_e32 v31, 0x7f800000, v44
	v_cmp_ne_u32_e32 vcc, s37, v31
                                        ; implicit-def: $vgpr31
	s_and_saveexec_b64 s[76:77], vcc
	s_xor_b64 s[76:77], exec, s[76:77]
; %bb.725:                              ;   in Loop: Header=BB4_713 Depth=2
	v_bfe_u32 v31, v44, 16, 1
	v_add3_u32 v31, v44, v31, s38
                                        ; implicit-def: $vgpr44
; %bb.726:                              ;   in Loop: Header=BB4_713 Depth=2
	s_andn2_saveexec_b64 s[76:77], s[76:77]
; %bb.727:                              ;   in Loop: Header=BB4_713 Depth=2
	v_or_b32_e32 v31, 0x10000, v44
	v_cmp_eq_u32_sdwa vcc, v44, v11 src0_sel:WORD_0 src1_sel:DWORD
	v_cndmask_b32_e32 v31, v31, v44, vcc
; %bb.728:                              ;   in Loop: Header=BB4_713 Depth=2
	s_or_b64 exec, exec, s[76:77]
	v_and_b32_e32 v54, 0xffff0000, v54
	v_and_b32_e32 v55, 0xffff0000, v55
	v_add_f32_e32 v55, v54, v55
	v_and_b32_e32 v54, 0x7f800000, v55
	v_cmp_ne_u32_e32 vcc, s37, v54
                                        ; implicit-def: $vgpr54
	s_and_saveexec_b64 s[76:77], vcc
	s_xor_b64 s[76:77], exec, s[76:77]
; %bb.729:                              ;   in Loop: Header=BB4_713 Depth=2
	v_bfe_u32 v54, v55, 16, 1
	v_add3_u32 v54, v55, v54, s38
                                        ; implicit-def: $vgpr55
; %bb.730:                              ;   in Loop: Header=BB4_713 Depth=2
	s_andn2_saveexec_b64 s[76:77], s[76:77]
; %bb.731:                              ;   in Loop: Header=BB4_713 Depth=2
	v_or_b32_e32 v54, 0x10000, v55
	v_cmp_eq_u32_sdwa vcc, v55, v11 src0_sel:WORD_0 src1_sel:DWORD
	v_cndmask_b32_e32 v54, v54, v55, vcc
; %bb.732:                              ;   in Loop: Header=BB4_713 Depth=2
	s_or_b64 exec, exec, s[76:77]
	v_lshlrev_b32_e32 v55, 16, v35
	s_waitcnt vmcnt(2)
	v_lshlrev_b32_e32 v44, 16, v50
	v_add_f32_e32 v44, v55, v44
	v_and_b32_e32 v55, 0x7f800000, v44
	v_cmp_ne_u32_e32 vcc, s37, v55
                                        ; implicit-def: $vgpr55
	s_and_saveexec_b64 s[76:77], vcc
	s_xor_b64 s[76:77], exec, s[76:77]
; %bb.733:                              ;   in Loop: Header=BB4_713 Depth=2
	v_bfe_u32 v55, v44, 16, 1
	v_add3_u32 v55, v44, v55, s38
                                        ; implicit-def: $vgpr44
; %bb.734:                              ;   in Loop: Header=BB4_713 Depth=2
	s_andn2_saveexec_b64 s[76:77], s[76:77]
; %bb.735:                              ;   in Loop: Header=BB4_713 Depth=2
	v_or_b32_e32 v55, 0x10000, v44
	v_cmp_eq_u32_sdwa vcc, v44, v11 src0_sel:WORD_0 src1_sel:DWORD
	v_cndmask_b32_e32 v55, v55, v44, vcc
; %bb.736:                              ;   in Loop: Header=BB4_713 Depth=2
	s_or_b64 exec, exec, s[76:77]
	v_and_b32_e32 v35, 0xffff0000, v35
	v_and_b32_e32 v50, 0xffff0000, v50
	v_add_f32_e32 v50, v35, v50
	v_and_b32_e32 v35, 0x7f800000, v50
	v_cmp_ne_u32_e32 vcc, s37, v35
                                        ; implicit-def: $vgpr35
	s_and_saveexec_b64 s[76:77], vcc
	s_xor_b64 s[76:77], exec, s[76:77]
; %bb.737:                              ;   in Loop: Header=BB4_713 Depth=2
	v_bfe_u32 v35, v50, 16, 1
	v_add3_u32 v35, v50, v35, s38
                                        ; implicit-def: $vgpr50
; %bb.738:                              ;   in Loop: Header=BB4_713 Depth=2
	s_andn2_saveexec_b64 s[76:77], s[76:77]
; %bb.739:                              ;   in Loop: Header=BB4_713 Depth=2
	v_or_b32_e32 v35, 0x10000, v50
	v_cmp_eq_u32_sdwa vcc, v50, v11 src0_sel:WORD_0 src1_sel:DWORD
	v_cndmask_b32_e32 v35, v35, v50, vcc
; %bb.740:                              ;   in Loop: Header=BB4_713 Depth=2
	s_or_b64 exec, exec, s[76:77]
	s_waitcnt vmcnt(0)
	v_lshlrev_b32_e32 v50, 16, v28
	v_lshlrev_b32_e32 v44, 16, v2
	v_add_f32_e32 v44, v50, v44
	v_and_b32_e32 v50, 0x7f800000, v44
	v_cmp_ne_u32_e32 vcc, s37, v50
                                        ; implicit-def: $vgpr50
	s_and_saveexec_b64 s[76:77], vcc
	s_xor_b64 s[76:77], exec, s[76:77]
; %bb.741:                              ;   in Loop: Header=BB4_713 Depth=2
	v_bfe_u32 v50, v44, 16, 1
	v_add3_u32 v50, v44, v50, s38
                                        ; implicit-def: $vgpr44
; %bb.742:                              ;   in Loop: Header=BB4_713 Depth=2
	s_andn2_saveexec_b64 s[76:77], s[76:77]
; %bb.743:                              ;   in Loop: Header=BB4_713 Depth=2
	v_or_b32_e32 v50, 0x10000, v44
	v_cmp_eq_u32_sdwa vcc, v44, v11 src0_sel:WORD_0 src1_sel:DWORD
	v_cndmask_b32_e32 v50, v50, v44, vcc
; %bb.744:                              ;   in Loop: Header=BB4_713 Depth=2
	s_or_b64 exec, exec, s[76:77]
	v_and_b32_e32 v28, 0xffff0000, v28
	v_and_b32_e32 v2, 0xffff0000, v2
	v_add_f32_e32 v28, v28, v2
	v_and_b32_e32 v2, 0x7f800000, v28
	v_cmp_ne_u32_e32 vcc, s37, v2
                                        ; implicit-def: $vgpr2
	s_and_saveexec_b64 s[76:77], vcc
	s_xor_b64 s[76:77], exec, s[76:77]
; %bb.745:                              ;   in Loop: Header=BB4_713 Depth=2
	v_bfe_u32 v2, v28, 16, 1
	v_add3_u32 v2, v28, v2, s38
                                        ; implicit-def: $vgpr28
; %bb.746:                              ;   in Loop: Header=BB4_713 Depth=2
	s_andn2_saveexec_b64 s[76:77], s[76:77]
; %bb.747:                              ;   in Loop: Header=BB4_713 Depth=2
	v_or_b32_e32 v2, 0x10000, v28
	v_cmp_eq_u32_sdwa vcc, v28, v11 src0_sel:WORD_0 src1_sel:DWORD
	v_cndmask_b32_e32 v2, v2, v28, vcc
; %bb.748:                              ;   in Loop: Header=BB4_713 Depth=2
	s_or_b64 exec, exec, s[76:77]
	v_lshrrev_b32_e32 v0, 16, v0
	v_lshrrev_b32_e32 v28, 16, v31
	v_and_or_b32 v44, v29, s39, v0
	v_lshrrev_b32_e32 v0, 16, v55
	v_and_or_b32 v45, v54, s39, v28
	v_and_or_b32 v46, v35, s39, v0
	v_lshrrev_b32_e32 v0, 16, v50
	v_and_or_b32 v47, v2, s39, v0
	buffer_store_dword v45, off, s[0:3], s33 offset:100
	buffer_store_dword v44, off, s[0:3], s33 offset:96
	;; [unrolled: 1-line block ×4, first 2 shown]
	buffer_load_dword v0, off, s[0:3], s33 offset:136 ; 4-byte Folded Reload
	s_nop 0
	global_store_dwordx4 v[21:22], v[44:47], off glc slc
	s_waitcnt vmcnt(1)
	v_add_co_u32_e32 v21, vcc, v0, v21
	buffer_load_dword v0, off, s[0:3], s33 offset:152 ; 4-byte Folded Reload
	s_waitcnt vmcnt(0)
	v_addc_co_u32_e32 v22, vcc, v0, v22, vcc
.LBB4_749:                              ;   in Loop: Header=BB4_713 Depth=2
	s_or_b64 exec, exec, s[20:21]
	v_add_co_u32_e32 v30, vcc, v30, v52
	v_addc_co_u32_e32 v34, vcc, v34, v53, vcc
	v_add_co_u32_e32 v19, vcc, v19, v52
	v_sub_u32_e32 v1, v1, v51
	v_addc_co_u32_e32 v20, vcc, v20, v53, vcc
	v_cmp_lt_i32_e64 s[76:77], 15, v1
	s_and_saveexec_b64 s[78:79], s[76:77]
	s_cbranch_execz .LBB4_752
; %bb.750:                              ;   in Loop: Header=BB4_713 Depth=2
	s_lshr_b32 s92, s33, 6
	s_addk_i32 s92, 0x60
	s_mov_b64 s[90:91], 0
	s_mov_b64 s[88:89], -1
.LBB4_751:                              ;   Parent Loop BB4_523 Depth=1
                                        ;     Parent Loop BB4_713 Depth=2
                                        ; =>    This Inner Loop Header: Depth=3
	s_cmp_eq_u32 s90, 1
	s_cselect_b64 s[20:21], -1, 0
	v_cndmask_b32_e64 v29, v34, v20, s[20:21]
	v_cndmask_b32_e64 v28, v30, v19, s[20:21]
	global_load_dwordx4 v[44:47], v[28:29], off glc slc
	v_mov_b32_e32 v0, s92
	s_cmp_eq_u32 s90, 0
	s_mov_b64 s[90:91], 1
	s_mov_b32 s92, s35
	s_waitcnt vmcnt(0)
	buffer_store_dword v45, v0, s[0:3], 0 offen offset:4
	buffer_store_dword v44, v0, s[0:3], 0 offen
	buffer_store_dword v47, v0, s[0:3], 0 offen offset:12
	buffer_store_dword v46, v0, s[0:3], 0 offen offset:8
	v_add_co_u32_e32 v0, vcc, s34, v28
	v_addc_co_u32_e32 v2, vcc, 0, v29, vcc
	s_cselect_b64 vcc, -1, 0
	v_cndmask_b32_e32 v34, v34, v2, vcc
	v_cndmask_b32_e32 v30, v30, v0, vcc
	v_cndmask_b32_e64 v20, v20, v2, s[20:21]
	v_cndmask_b32_e64 v19, v19, v0, s[20:21]
	s_and_b64 vcc, exec, s[88:89]
	s_mov_b64 s[88:89], 0
	s_cbranch_vccnz .LBB4_751
.LBB4_752:                              ;   in Loop: Header=BB4_713 Depth=2
	s_or_b64 exec, exec, s[78:79]
	buffer_load_dword v29, off, s[0:3], s33 offset:64
	buffer_load_dword v54, off, s[0:3], s33 offset:68
	;; [unrolled: 1-line block ×8, first 2 shown]
	s_waitcnt vmcnt(7)
	v_lshlrev_b32_e32 v0, 16, v29
	s_waitcnt vmcnt(4)
	v_lshlrev_b32_e32 v44, 16, v31
	v_add_f32_e32 v44, v0, v44
	v_and_b32_e32 v0, 0x7f800000, v44
	v_cmp_ne_u32_e32 vcc, s37, v0
                                        ; implicit-def: $vgpr0
	s_and_saveexec_b64 s[20:21], vcc
	s_xor_b64 s[20:21], exec, s[20:21]
; %bb.753:                              ;   in Loop: Header=BB4_713 Depth=2
	v_bfe_u32 v0, v44, 16, 1
	v_add3_u32 v0, v44, v0, s38
                                        ; implicit-def: $vgpr44
; %bb.754:                              ;   in Loop: Header=BB4_713 Depth=2
	s_andn2_saveexec_b64 s[20:21], s[20:21]
; %bb.755:                              ;   in Loop: Header=BB4_713 Depth=2
	v_or_b32_e32 v0, 0x10000, v44
	v_cmp_eq_u32_sdwa vcc, v44, v11 src0_sel:WORD_0 src1_sel:DWORD
	v_cndmask_b32_e32 v0, v0, v44, vcc
; %bb.756:                              ;   in Loop: Header=BB4_713 Depth=2
	s_or_b64 exec, exec, s[20:21]
	v_and_b32_e32 v29, 0xffff0000, v29
	v_and_b32_e32 v31, 0xffff0000, v31
	v_add_f32_e32 v31, v29, v31
	v_and_b32_e32 v29, 0x7f800000, v31
	v_cmp_ne_u32_e32 vcc, s37, v29
                                        ; implicit-def: $vgpr29
	s_and_saveexec_b64 s[20:21], vcc
	s_xor_b64 s[20:21], exec, s[20:21]
; %bb.757:                              ;   in Loop: Header=BB4_713 Depth=2
	v_bfe_u32 v29, v31, 16, 1
	v_add3_u32 v29, v31, v29, s38
                                        ; implicit-def: $vgpr31
; %bb.758:                              ;   in Loop: Header=BB4_713 Depth=2
	s_andn2_saveexec_b64 s[20:21], s[20:21]
; %bb.759:                              ;   in Loop: Header=BB4_713 Depth=2
	v_or_b32_e32 v29, 0x10000, v31
	v_cmp_eq_u32_sdwa vcc, v31, v11 src0_sel:WORD_0 src1_sel:DWORD
	v_cndmask_b32_e32 v29, v29, v31, vcc
; %bb.760:                              ;   in Loop: Header=BB4_713 Depth=2
	s_or_b64 exec, exec, s[20:21]
	v_lshlrev_b32_e32 v31, 16, v54
	s_waitcnt vmcnt(3)
	v_lshlrev_b32_e32 v44, 16, v55
	v_add_f32_e32 v44, v31, v44
	v_and_b32_e32 v31, 0x7f800000, v44
	v_cmp_ne_u32_e32 vcc, s37, v31
                                        ; implicit-def: $vgpr31
	s_and_saveexec_b64 s[20:21], vcc
	s_xor_b64 s[20:21], exec, s[20:21]
; %bb.761:                              ;   in Loop: Header=BB4_713 Depth=2
	v_bfe_u32 v31, v44, 16, 1
	v_add3_u32 v31, v44, v31, s38
                                        ; implicit-def: $vgpr44
; %bb.762:                              ;   in Loop: Header=BB4_713 Depth=2
	s_andn2_saveexec_b64 s[20:21], s[20:21]
; %bb.763:                              ;   in Loop: Header=BB4_713 Depth=2
	v_or_b32_e32 v31, 0x10000, v44
	v_cmp_eq_u32_sdwa vcc, v44, v11 src0_sel:WORD_0 src1_sel:DWORD
	v_cndmask_b32_e32 v31, v31, v44, vcc
; %bb.764:                              ;   in Loop: Header=BB4_713 Depth=2
	s_or_b64 exec, exec, s[20:21]
	v_and_b32_e32 v54, 0xffff0000, v54
	v_and_b32_e32 v55, 0xffff0000, v55
	v_add_f32_e32 v55, v54, v55
	v_and_b32_e32 v54, 0x7f800000, v55
	v_cmp_ne_u32_e32 vcc, s37, v54
                                        ; implicit-def: $vgpr54
	s_and_saveexec_b64 s[20:21], vcc
	s_xor_b64 s[20:21], exec, s[20:21]
; %bb.765:                              ;   in Loop: Header=BB4_713 Depth=2
	v_bfe_u32 v54, v55, 16, 1
	v_add3_u32 v54, v55, v54, s38
                                        ; implicit-def: $vgpr55
; %bb.766:                              ;   in Loop: Header=BB4_713 Depth=2
	s_andn2_saveexec_b64 s[20:21], s[20:21]
; %bb.767:                              ;   in Loop: Header=BB4_713 Depth=2
	v_or_b32_e32 v54, 0x10000, v55
	v_cmp_eq_u32_sdwa vcc, v55, v11 src0_sel:WORD_0 src1_sel:DWORD
	v_cndmask_b32_e32 v54, v54, v55, vcc
; %bb.768:                              ;   in Loop: Header=BB4_713 Depth=2
	s_or_b64 exec, exec, s[20:21]
	v_lshlrev_b32_e32 v55, 16, v35
	s_waitcnt vmcnt(2)
	v_lshlrev_b32_e32 v44, 16, v50
	v_add_f32_e32 v44, v55, v44
	v_and_b32_e32 v55, 0x7f800000, v44
	v_cmp_ne_u32_e32 vcc, s37, v55
                                        ; implicit-def: $vgpr55
	s_and_saveexec_b64 s[20:21], vcc
	s_xor_b64 s[20:21], exec, s[20:21]
; %bb.769:                              ;   in Loop: Header=BB4_713 Depth=2
	v_bfe_u32 v55, v44, 16, 1
	v_add3_u32 v55, v44, v55, s38
                                        ; implicit-def: $vgpr44
; %bb.770:                              ;   in Loop: Header=BB4_713 Depth=2
	s_andn2_saveexec_b64 s[20:21], s[20:21]
; %bb.771:                              ;   in Loop: Header=BB4_713 Depth=2
	v_or_b32_e32 v55, 0x10000, v44
	v_cmp_eq_u32_sdwa vcc, v44, v11 src0_sel:WORD_0 src1_sel:DWORD
	v_cndmask_b32_e32 v55, v55, v44, vcc
; %bb.772:                              ;   in Loop: Header=BB4_713 Depth=2
	s_or_b64 exec, exec, s[20:21]
	v_and_b32_e32 v35, 0xffff0000, v35
	v_and_b32_e32 v50, 0xffff0000, v50
	v_add_f32_e32 v50, v35, v50
	v_and_b32_e32 v35, 0x7f800000, v50
	v_cmp_ne_u32_e32 vcc, s37, v35
                                        ; implicit-def: $vgpr35
	s_and_saveexec_b64 s[20:21], vcc
	s_xor_b64 s[20:21], exec, s[20:21]
; %bb.773:                              ;   in Loop: Header=BB4_713 Depth=2
	v_bfe_u32 v35, v50, 16, 1
	v_add3_u32 v35, v50, v35, s38
                                        ; implicit-def: $vgpr50
; %bb.774:                              ;   in Loop: Header=BB4_713 Depth=2
	s_andn2_saveexec_b64 s[20:21], s[20:21]
; %bb.775:                              ;   in Loop: Header=BB4_713 Depth=2
	v_or_b32_e32 v35, 0x10000, v50
	v_cmp_eq_u32_sdwa vcc, v50, v11 src0_sel:WORD_0 src1_sel:DWORD
	v_cndmask_b32_e32 v35, v35, v50, vcc
; %bb.776:                              ;   in Loop: Header=BB4_713 Depth=2
	s_or_b64 exec, exec, s[20:21]
	s_waitcnt vmcnt(0)
	v_lshlrev_b32_e32 v50, 16, v28
	v_lshlrev_b32_e32 v44, 16, v2
	v_add_f32_e32 v44, v50, v44
	v_and_b32_e32 v50, 0x7f800000, v44
	v_cmp_ne_u32_e32 vcc, s37, v50
                                        ; implicit-def: $vgpr50
	s_and_saveexec_b64 s[20:21], vcc
	s_xor_b64 s[20:21], exec, s[20:21]
; %bb.777:                              ;   in Loop: Header=BB4_713 Depth=2
	v_bfe_u32 v50, v44, 16, 1
	v_add3_u32 v50, v44, v50, s38
                                        ; implicit-def: $vgpr44
; %bb.778:                              ;   in Loop: Header=BB4_713 Depth=2
	s_andn2_saveexec_b64 s[20:21], s[20:21]
; %bb.779:                              ;   in Loop: Header=BB4_713 Depth=2
	v_or_b32_e32 v50, 0x10000, v44
	v_cmp_eq_u32_sdwa vcc, v44, v11 src0_sel:WORD_0 src1_sel:DWORD
	v_cndmask_b32_e32 v50, v50, v44, vcc
; %bb.780:                              ;   in Loop: Header=BB4_713 Depth=2
	s_or_b64 exec, exec, s[20:21]
	v_and_b32_e32 v28, 0xffff0000, v28
	v_and_b32_e32 v2, 0xffff0000, v2
	v_add_f32_e32 v28, v28, v2
	v_and_b32_e32 v2, 0x7f800000, v28
	v_cmp_ne_u32_e32 vcc, s37, v2
                                        ; implicit-def: $vgpr2
	s_and_saveexec_b64 s[20:21], vcc
	s_xor_b64 s[20:21], exec, s[20:21]
; %bb.781:                              ;   in Loop: Header=BB4_713 Depth=2
	v_bfe_u32 v2, v28, 16, 1
	v_add3_u32 v2, v28, v2, s38
                                        ; implicit-def: $vgpr28
; %bb.782:                              ;   in Loop: Header=BB4_713 Depth=2
	s_andn2_saveexec_b64 s[20:21], s[20:21]
; %bb.783:                              ;   in Loop: Header=BB4_713 Depth=2
	v_or_b32_e32 v2, 0x10000, v28
	v_cmp_eq_u32_sdwa vcc, v28, v11 src0_sel:WORD_0 src1_sel:DWORD
	v_cndmask_b32_e32 v2, v2, v28, vcc
; %bb.784:                              ;   in Loop: Header=BB4_713 Depth=2
	s_or_b64 exec, exec, s[20:21]
	v_lshrrev_b32_e32 v0, 16, v0
	v_and_or_b32 v44, v29, s39, v0
	v_lshrrev_b32_e32 v0, 16, v55
	v_lshrrev_b32_e32 v28, 16, v31
	v_and_or_b32 v46, v35, s39, v0
	v_lshrrev_b32_e32 v0, 16, v50
	v_and_or_b32 v45, v54, s39, v28
	v_and_or_b32 v47, v2, s39, v0
	buffer_store_dword v45, off, s[0:3], s33 offset:68
	buffer_store_dword v44, off, s[0:3], s33 offset:64
	buffer_store_dword v47, off, s[0:3], s33 offset:76
	buffer_store_dword v46, off, s[0:3], s33 offset:72
	global_store_dwordx4 v[21:22], v[44:47], off glc slc
	v_add_co_u32_e32 v21, vcc, 0x400, v21
	v_sub_u32_e32 v27, v27, v25
	v_addc_co_u32_e32 v22, vcc, 0, v22, vcc
	s_and_saveexec_b64 s[20:21], s[76:77]
	s_cbranch_execz .LBB4_712
; %bb.785:                              ;   in Loop: Header=BB4_713 Depth=2
	v_add_co_u32_e32 v30, vcc, v30, v52
	v_addc_co_u32_e32 v34, vcc, v34, v53, vcc
	v_add_co_u32_e32 v19, vcc, v19, v52
	v_addc_co_u32_e32 v20, vcc, v20, v53, vcc
	;; [unrolled: 2-line block ×3, first 2 shown]
	v_sub_u32_e32 v1, v1, v51
	v_sub_u32_e32 v27, v27, v25
	s_branch .LBB4_712
.LBB4_786:                              ;   in Loop: Header=BB4_523 Depth=1
	s_or_b64 exec, exec, s[72:73]
	s_and_b64 s[72:73], s[74:75], exec
.LBB4_787:                              ;   in Loop: Header=BB4_523 Depth=1
	s_or_b64 exec, exec, s[62:63]
	s_and_saveexec_b64 s[20:21], s[72:73]
	s_cbranch_execz .LBB4_821
; %bb.788:                              ;   in Loop: Header=BB4_523 Depth=1
	s_waitcnt lgkmcnt(0)
	buffer_load_dword v19, off, s[0:3], s33 offset:96
	buffer_load_dword v30, off, s[0:3], s33 offset:100
	;; [unrolled: 1-line block ×8, first 2 shown]
	s_waitcnt vmcnt(7)
	v_lshlrev_b32_e32 v0, 16, v19
	s_waitcnt vmcnt(4)
	v_lshlrev_b32_e32 v34, 16, v20
	v_add_f32_e32 v34, v0, v34
	v_and_b32_e32 v0, 0x7f800000, v34
	v_cmp_ne_u32_e32 vcc, s37, v0
                                        ; implicit-def: $vgpr0
	s_and_saveexec_b64 s[62:63], vcc
	s_xor_b64 s[62:63], exec, s[62:63]
; %bb.789:                              ;   in Loop: Header=BB4_523 Depth=1
	v_bfe_u32 v0, v34, 16, 1
	v_add3_u32 v0, v34, v0, s38
                                        ; implicit-def: $vgpr34
; %bb.790:                              ;   in Loop: Header=BB4_523 Depth=1
	s_andn2_saveexec_b64 s[62:63], s[62:63]
; %bb.791:                              ;   in Loop: Header=BB4_523 Depth=1
	v_or_b32_e32 v0, 0x10000, v34
	v_cmp_eq_u32_sdwa vcc, v34, v11 src0_sel:WORD_0 src1_sel:DWORD
	v_cndmask_b32_e32 v0, v0, v34, vcc
; %bb.792:                              ;   in Loop: Header=BB4_523 Depth=1
	s_or_b64 exec, exec, s[62:63]
	v_and_b32_e32 v19, 0xffff0000, v19
	v_and_b32_e32 v20, 0xffff0000, v20
	v_add_f32_e32 v20, v19, v20
	v_and_b32_e32 v19, 0x7f800000, v20
	v_cmp_ne_u32_e32 vcc, s37, v19
                                        ; implicit-def: $vgpr19
	s_and_saveexec_b64 s[62:63], vcc
	s_xor_b64 s[62:63], exec, s[62:63]
; %bb.793:                              ;   in Loop: Header=BB4_523 Depth=1
	v_bfe_u32 v19, v20, 16, 1
	v_add3_u32 v19, v20, v19, s38
                                        ; implicit-def: $vgpr20
; %bb.794:                              ;   in Loop: Header=BB4_523 Depth=1
	s_andn2_saveexec_b64 s[62:63], s[62:63]
; %bb.795:                              ;   in Loop: Header=BB4_523 Depth=1
	v_or_b32_e32 v19, 0x10000, v20
	v_cmp_eq_u32_sdwa vcc, v20, v11 src0_sel:WORD_0 src1_sel:DWORD
	v_cndmask_b32_e32 v19, v19, v20, vcc
; %bb.796:                              ;   in Loop: Header=BB4_523 Depth=1
	s_or_b64 exec, exec, s[62:63]
	v_lshlrev_b32_e32 v20, 16, v30
	s_waitcnt vmcnt(3)
	v_lshlrev_b32_e32 v34, 16, v31
	v_add_f32_e32 v34, v20, v34
	v_and_b32_e32 v20, 0x7f800000, v34
	v_cmp_ne_u32_e32 vcc, s37, v20
                                        ; implicit-def: $vgpr20
	s_and_saveexec_b64 s[62:63], vcc
	s_xor_b64 s[62:63], exec, s[62:63]
; %bb.797:                              ;   in Loop: Header=BB4_523 Depth=1
	v_bfe_u32 v20, v34, 16, 1
	v_add3_u32 v20, v34, v20, s38
                                        ; implicit-def: $vgpr34
; %bb.798:                              ;   in Loop: Header=BB4_523 Depth=1
	s_andn2_saveexec_b64 s[62:63], s[62:63]
; %bb.799:                              ;   in Loop: Header=BB4_523 Depth=1
	v_or_b32_e32 v20, 0x10000, v34
	v_cmp_eq_u32_sdwa vcc, v34, v11 src0_sel:WORD_0 src1_sel:DWORD
	v_cndmask_b32_e32 v20, v20, v34, vcc
; %bb.800:                              ;   in Loop: Header=BB4_523 Depth=1
	s_or_b64 exec, exec, s[62:63]
	v_and_b32_e32 v30, 0xffff0000, v30
	v_and_b32_e32 v31, 0xffff0000, v31
	v_add_f32_e32 v31, v30, v31
	v_and_b32_e32 v30, 0x7f800000, v31
	v_cmp_ne_u32_e32 vcc, s37, v30
                                        ; implicit-def: $vgpr30
	s_and_saveexec_b64 s[62:63], vcc
	s_xor_b64 s[62:63], exec, s[62:63]
; %bb.801:                              ;   in Loop: Header=BB4_523 Depth=1
	v_bfe_u32 v30, v31, 16, 1
	v_add3_u32 v30, v31, v30, s38
                                        ; implicit-def: $vgpr31
; %bb.802:                              ;   in Loop: Header=BB4_523 Depth=1
	s_andn2_saveexec_b64 s[62:63], s[62:63]
; %bb.803:                              ;   in Loop: Header=BB4_523 Depth=1
	v_or_b32_e32 v30, 0x10000, v31
	v_cmp_eq_u32_sdwa vcc, v31, v11 src0_sel:WORD_0 src1_sel:DWORD
	v_cndmask_b32_e32 v30, v30, v31, vcc
; %bb.804:                              ;   in Loop: Header=BB4_523 Depth=1
	s_or_b64 exec, exec, s[62:63]
	v_lshlrev_b32_e32 v31, 16, v28
	s_waitcnt vmcnt(2)
	v_lshlrev_b32_e32 v34, 16, v29
	v_add_f32_e32 v34, v31, v34
	v_and_b32_e32 v31, 0x7f800000, v34
	v_cmp_ne_u32_e32 vcc, s37, v31
                                        ; implicit-def: $vgpr31
	s_and_saveexec_b64 s[62:63], vcc
	s_xor_b64 s[62:63], exec, s[62:63]
; %bb.805:                              ;   in Loop: Header=BB4_523 Depth=1
	v_bfe_u32 v31, v34, 16, 1
	v_add3_u32 v31, v34, v31, s38
                                        ; implicit-def: $vgpr34
; %bb.806:                              ;   in Loop: Header=BB4_523 Depth=1
	s_andn2_saveexec_b64 s[62:63], s[62:63]
; %bb.807:                              ;   in Loop: Header=BB4_523 Depth=1
	v_or_b32_e32 v31, 0x10000, v34
	v_cmp_eq_u32_sdwa vcc, v34, v11 src0_sel:WORD_0 src1_sel:DWORD
	v_cndmask_b32_e32 v31, v31, v34, vcc
; %bb.808:                              ;   in Loop: Header=BB4_523 Depth=1
	s_or_b64 exec, exec, s[62:63]
	v_and_b32_e32 v28, 0xffff0000, v28
	v_and_b32_e32 v29, 0xffff0000, v29
	v_add_f32_e32 v29, v28, v29
	v_and_b32_e32 v28, 0x7f800000, v29
	v_cmp_ne_u32_e32 vcc, s37, v28
                                        ; implicit-def: $vgpr28
	s_and_saveexec_b64 s[62:63], vcc
	s_xor_b64 s[62:63], exec, s[62:63]
; %bb.809:                              ;   in Loop: Header=BB4_523 Depth=1
	v_bfe_u32 v28, v29, 16, 1
	v_add3_u32 v28, v29, v28, s38
                                        ; implicit-def: $vgpr29
; %bb.810:                              ;   in Loop: Header=BB4_523 Depth=1
	s_andn2_saveexec_b64 s[62:63], s[62:63]
; %bb.811:                              ;   in Loop: Header=BB4_523 Depth=1
	v_or_b32_e32 v28, 0x10000, v29
	v_cmp_eq_u32_sdwa vcc, v29, v11 src0_sel:WORD_0 src1_sel:DWORD
	v_cndmask_b32_e32 v28, v28, v29, vcc
; %bb.812:                              ;   in Loop: Header=BB4_523 Depth=1
	s_or_b64 exec, exec, s[62:63]
	s_waitcnt vmcnt(0)
	v_lshlrev_b32_e32 v29, 16, v2
	v_lshlrev_b32_e32 v34, 16, v1
	v_add_f32_e32 v34, v29, v34
	v_and_b32_e32 v29, 0x7f800000, v34
	v_cmp_ne_u32_e32 vcc, s37, v29
                                        ; implicit-def: $vgpr29
	s_and_saveexec_b64 s[62:63], vcc
	s_xor_b64 s[62:63], exec, s[62:63]
; %bb.813:                              ;   in Loop: Header=BB4_523 Depth=1
	v_bfe_u32 v29, v34, 16, 1
	v_add3_u32 v29, v34, v29, s38
                                        ; implicit-def: $vgpr34
; %bb.814:                              ;   in Loop: Header=BB4_523 Depth=1
	s_andn2_saveexec_b64 s[62:63], s[62:63]
; %bb.815:                              ;   in Loop: Header=BB4_523 Depth=1
	v_or_b32_e32 v29, 0x10000, v34
	v_cmp_eq_u32_sdwa vcc, v34, v11 src0_sel:WORD_0 src1_sel:DWORD
	v_cndmask_b32_e32 v29, v29, v34, vcc
; %bb.816:                              ;   in Loop: Header=BB4_523 Depth=1
	s_or_b64 exec, exec, s[62:63]
	v_and_b32_e32 v2, 0xffff0000, v2
	v_and_b32_e32 v1, 0xffff0000, v1
	v_add_f32_e32 v2, v2, v1
	v_and_b32_e32 v1, 0x7f800000, v2
	v_cmp_ne_u32_e32 vcc, s37, v1
                                        ; implicit-def: $vgpr1
	s_and_saveexec_b64 s[62:63], vcc
	s_xor_b64 s[62:63], exec, s[62:63]
; %bb.817:                              ;   in Loop: Header=BB4_523 Depth=1
	v_bfe_u32 v1, v2, 16, 1
	v_add3_u32 v1, v2, v1, s38
                                        ; implicit-def: $vgpr2
; %bb.818:                              ;   in Loop: Header=BB4_523 Depth=1
	s_andn2_saveexec_b64 s[62:63], s[62:63]
; %bb.819:                              ;   in Loop: Header=BB4_523 Depth=1
	v_or_b32_e32 v1, 0x10000, v2
	v_cmp_eq_u32_sdwa vcc, v2, v11 src0_sel:WORD_0 src1_sel:DWORD
	v_cndmask_b32_e32 v1, v1, v2, vcc
; %bb.820:                              ;   in Loop: Header=BB4_523 Depth=1
	s_or_b64 exec, exec, s[62:63]
	v_lshrrev_b32_e32 v0, 16, v0
	v_and_or_b32 v44, v19, s39, v0
	v_lshrrev_b32_e32 v0, 16, v31
	v_lshrrev_b32_e32 v2, 16, v20
	v_and_or_b32 v46, v28, s39, v0
	v_lshrrev_b32_e32 v0, 16, v29
	v_and_or_b32 v45, v30, s39, v2
	v_and_or_b32 v47, v1, s39, v0
	global_store_dwordx4 v[21:22], v[44:47], off glc slc
.LBB4_821:                              ;   in Loop: Header=BB4_523 Depth=1
	s_or_b64 exec, exec, s[20:21]
	v_and_b32_e32 v2, 14, v3
	v_cndmask_b32_e64 v1, v26, v2, s[18:19]
	v_cmp_ne_u32_e32 vcc, 0, v1
	s_mov_b64 s[62:63], s[58:59]
                                        ; implicit-def: $vgpr30
                                        ; implicit-def: $vgpr0
                                        ; implicit-def: $vgpr34
	s_and_saveexec_b64 s[20:21], vcc
	s_cbranch_execz .LBB4_823
; %bb.822:                              ;   in Loop: Header=BB4_523 Depth=1
	v_sub_u32_e32 v0, v26, v2
	v_cndmask_b32_e64 v0, 0, v0, s[18:19]
	v_cmp_lt_i32_e32 vcc, 0, v27
	v_add3_u32 v30, v24, v10, v0
	v_cndmask_b32_e32 v0, 0, v25, vcc
	v_sub_u32_e32 v0, v0, v27
	v_lshl_add_u32 v0, v0, 6, v23
	v_ashrrev_i32_e32 v2, 31, v0
	v_lshrrev_b32_e32 v2, 26, v2
	v_add_u32_e32 v2, v0, v2
	v_and_b32_e32 v2, 0xffffffc0, v2
	v_sub_u32_e32 v34, v0, v2
	s_or_b64 s[62:63], s[58:59], exec
.LBB4_823:                              ;   in Loop: Header=BB4_523 Depth=1
	s_or_b64 exec, exec, s[20:21]
	s_andn2_b64 s[18:19], s[58:59], exec
	s_and_b64 s[20:21], s[62:63], exec
	s_or_b64 s[58:59], s[18:19], s[20:21]
.LBB4_824:                              ;   in Loop: Header=BB4_523 Depth=1
	s_or_b64 exec, exec, s[60:61]
	s_and_saveexec_b64 s[20:21], s[58:59]
	s_cbranch_execz .LBB4_908
.LBB4_825:                              ;   in Loop: Header=BB4_523 Depth=1
	s_waitcnt vmcnt(0)
	v_ashrrev_i32_e32 v2, 31, v0
	v_lshrrev_b32_e32 v2, 26, v2
	v_add_u32_e32 v0, v0, v2
	v_ashrrev_i32_e32 v0, 6, v0
	v_lshlrev_b32_e32 v2, 9, v0
	s_waitcnt vmcnt(0)
	v_lshlrev_b32_e32 v3, 1, v34
	v_add3_u32 v27, v30, v3, v2
	v_ashrrev_i32_e32 v2, 31, v1
	v_lshrrev_b32_e32 v2, 23, v2
	v_add_u32_e32 v2, v1, v2
	v_ashrrev_i32_e32 v3, 9, v2
	v_ashrrev_i32_e32 v29, 31, v27
	s_waitcnt lgkmcnt(0)
	v_add_co_u32_e32 v19, vcc, v17, v27
	v_sub_u32_e32 v10, v3, v0
	v_addc_co_u32_e32 v20, vcc, v18, v29, vcc
	v_cmp_lt_i32_e32 vcc, 0, v10
	v_mov_b32_e32 v21, 0
	s_mov_b64 s[58:59], 0
	v_mov_b32_e32 v24, 0
	v_mov_b32_e32 v22, 0
	;; [unrolled: 1-line block ×7, first 2 shown]
	s_and_saveexec_b64 s[18:19], vcc
	s_cbranch_execz .LBB4_865
; %bb.826:                              ;   in Loop: Header=BB4_523 Depth=1
	s_trap 2
	ds_read_b64 v[23:24], v0
	v_add_co_u32_e32 v21, vcc, v27, v15
	v_addc_co_u32_e32 v22, vcc, v29, v16, vcc
	s_waitcnt lgkmcnt(0)
	v_add_co_u32_e32 v23, vcc, v23, v27
	v_addc_co_u32_e32 v24, vcc, v24, v29, vcc
	s_mov_b64 s[62:63], 0
	s_mov_b64 s[60:61], 0
                                        ; implicit-def: $sgpr58_sgpr59
                                        ; implicit-def: $vgpr31
                                        ; implicit-def: $vgpr57
                                        ; implicit-def: $vgpr61
                                        ; implicit-def: $vgpr60
                                        ; implicit-def: $vgpr26
                                        ; implicit-def: $vgpr27
                                        ; implicit-def: $vgpr35
                                        ; implicit-def: $vgpr59
	s_branch .LBB4_828
.LBB4_827:                              ;   in Loop: Header=BB4_828 Depth=2
	s_or_b64 exec, exec, s[72:73]
	flat_store_short_d16_hi v[19:20], v0 glc slc
	flat_store_short_d16_hi v[19:20], v2 offset:128 glc slc
	flat_store_short_d16_hi v[19:20], v28 offset:256 glc slc
	;; [unrolled: 1-line block ×3, first 2 shown]
	v_add_co_u32_e32 v0, vcc, v21, v40
	v_ashrrev_i32_e32 v29, 31, v40
	v_addc_co_u32_e32 v2, vcc, v22, v29, vcc
	v_add_co_u32_e32 v28, vcc, v23, v40
	v_mov_b32_e32 v54, 0x200
	v_addc_co_u32_e32 v29, vcc, v24, v29, vcc
	v_cndmask_b32_e64 v54, v54, v42, s[62:63]
	v_cndmask_b32_e64 v50, 0, v43, s[62:63]
	v_add_co_u32_e32 v19, vcc, v19, v54
	v_cndmask_b32_e64 v21, v21, v0, s[62:63]
	v_cndmask_b32_e64 v0, 0, v25, s[62:63]
	v_addc_co_u32_e32 v20, vcc, v20, v50, vcc
	v_sub_u32_e32 v10, v10, v0
	v_cmp_gt_i32_e32 vcc, 1, v10
	s_or_b64 s[60:61], vcc, s[60:61]
	s_andn2_b64 s[58:59], s[58:59], exec
	s_and_b64 s[72:73], s[62:63], exec
	v_cndmask_b32_e64 v22, v22, v2, s[62:63]
	v_cndmask_b32_e64 v24, v24, v29, s[62:63]
	;; [unrolled: 1-line block ×3, first 2 shown]
	s_or_b64 s[58:59], s[58:59], s[72:73]
	s_andn2_b64 exec, exec, s[60:61]
	s_cbranch_execz .LBB4_864
.LBB4_828:                              ;   Parent Loop BB4_523 Depth=1
                                        ; =>  This Inner Loop Header: Depth=2
	flat_load_ushort v0, v[21:22] glc slc
	flat_load_ushort v2, v[21:22] offset:128 glc slc
	flat_load_ushort v28, v[21:22] offset:256 glc slc
	;; [unrolled: 1-line block ×3, first 2 shown]
	flat_load_ushort v55, v[23:24] glc slc
	flat_load_ushort v54, v[23:24] offset:128 glc slc
	flat_load_ushort v44, v[23:24] offset:256 glc slc
	;; [unrolled: 1-line block ×3, first 2 shown]
	s_and_saveexec_b64 s[72:73], s[62:63]
	s_cbranch_execz .LBB4_846
; %bb.829:                              ;   in Loop: Header=BB4_828 Depth=2
	v_lshlrev_b32_e32 v31, 16, v31
	v_lshlrev_b32_e32 v45, 16, v26
	v_add_f32_e32 v47, v31, v45
	v_and_b32_e32 v31, 0x7f800000, v47
	v_cmp_ne_u32_e32 vcc, s37, v31
                                        ; implicit-def: $vgpr31
	s_and_saveexec_b64 s[62:63], vcc
	s_xor_b64 s[62:63], exec, s[62:63]
; %bb.830:                              ;   in Loop: Header=BB4_828 Depth=2
	v_bfe_u32 v31, v47, 16, 1
	v_add3_u32 v31, v47, v31, s38
                                        ; implicit-def: $vgpr47
; %bb.831:                              ;   in Loop: Header=BB4_828 Depth=2
	s_andn2_saveexec_b64 s[62:63], s[62:63]
; %bb.832:                              ;   in Loop: Header=BB4_828 Depth=2
	v_or_b32_e32 v31, 0x10000, v47
	v_cmp_eq_u32_sdwa vcc, v47, v11 src0_sel:WORD_0 src1_sel:DWORD
	v_cndmask_b32_e32 v31, v31, v47, vcc
; %bb.833:                              ;   in Loop: Header=BB4_828 Depth=2
	s_or_b64 exec, exec, s[62:63]
	v_lshlrev_b32_e32 v45, 16, v57
	v_lshlrev_b32_e32 v46, 16, v27
	v_add_f32_e32 v47, v45, v46
	v_and_b32_e32 v45, 0x7f800000, v47
	v_cmp_ne_u32_e32 vcc, s37, v45
                                        ; implicit-def: $vgpr57
	s_and_saveexec_b64 s[62:63], vcc
	s_xor_b64 s[62:63], exec, s[62:63]
; %bb.834:                              ;   in Loop: Header=BB4_828 Depth=2
	v_bfe_u32 v45, v47, 16, 1
	v_add3_u32 v57, v47, v45, s38
                                        ; implicit-def: $vgpr47
; %bb.835:                              ;   in Loop: Header=BB4_828 Depth=2
	s_andn2_saveexec_b64 s[62:63], s[62:63]
; %bb.836:                              ;   in Loop: Header=BB4_828 Depth=2
	v_or_b32_e32 v45, 0x10000, v47
	v_cmp_eq_u32_sdwa vcc, v47, v11 src0_sel:WORD_0 src1_sel:DWORD
	v_cndmask_b32_e32 v57, v45, v47, vcc
; %bb.837:                              ;   in Loop: Header=BB4_828 Depth=2
	s_or_b64 exec, exec, s[62:63]
	v_lshlrev_b32_e32 v45, 16, v61
	v_lshlrev_b32_e32 v46, 16, v35
	v_add_f32_e32 v47, v45, v46
	v_and_b32_e32 v45, 0x7f800000, v47
	v_cmp_ne_u32_e32 vcc, s37, v45
                                        ; implicit-def: $vgpr61
	s_and_saveexec_b64 s[62:63], vcc
	s_xor_b64 s[62:63], exec, s[62:63]
; %bb.838:                              ;   in Loop: Header=BB4_828 Depth=2
	v_bfe_u32 v45, v47, 16, 1
	v_add3_u32 v61, v47, v45, s38
                                        ; implicit-def: $vgpr47
; %bb.839:                              ;   in Loop: Header=BB4_828 Depth=2
	s_andn2_saveexec_b64 s[62:63], s[62:63]
; %bb.840:                              ;   in Loop: Header=BB4_828 Depth=2
	v_or_b32_e32 v45, 0x10000, v47
	v_cmp_eq_u32_sdwa vcc, v47, v11 src0_sel:WORD_0 src1_sel:DWORD
	v_cndmask_b32_e32 v61, v45, v47, vcc
; %bb.841:                              ;   in Loop: Header=BB4_828 Depth=2
	s_or_b64 exec, exec, s[62:63]
	v_lshlrev_b32_e32 v45, 16, v60
	v_lshlrev_b32_e32 v46, 16, v59
	v_add_f32_e32 v47, v45, v46
	v_and_b32_e32 v45, 0x7f800000, v47
	v_cmp_ne_u32_e32 vcc, s37, v45
                                        ; implicit-def: $vgpr60
	s_and_saveexec_b64 s[62:63], vcc
	s_xor_b64 s[62:63], exec, s[62:63]
; %bb.842:                              ;   in Loop: Header=BB4_828 Depth=2
	v_bfe_u32 v45, v47, 16, 1
	v_add3_u32 v60, v47, v45, s38
                                        ; implicit-def: $vgpr47
; %bb.843:                              ;   in Loop: Header=BB4_828 Depth=2
	s_andn2_saveexec_b64 s[62:63], s[62:63]
; %bb.844:                              ;   in Loop: Header=BB4_828 Depth=2
	v_or_b32_e32 v45, 0x10000, v47
	v_cmp_eq_u32_sdwa vcc, v47, v11 src0_sel:WORD_0 src1_sel:DWORD
	v_cndmask_b32_e32 v60, v45, v47, vcc
; %bb.845:                              ;   in Loop: Header=BB4_828 Depth=2
	s_or_b64 exec, exec, s[62:63]
	v_lshrrev_b32_e32 v31, 16, v31
	v_lshrrev_b32_e32 v61, 16, v61
	;; [unrolled: 1-line block ×4, first 2 shown]
	flat_store_short v[19:20], v31 glc slc
	flat_store_short v[19:20], v57 offset:128 glc slc
	flat_store_short v[19:20], v61 offset:256 glc slc
	;; [unrolled: 1-line block ×3, first 2 shown]
	v_add_co_u32_e32 v19, vcc, v19, v42
	v_addc_co_u32_e32 v20, vcc, v20, v43, vcc
.LBB4_846:                              ;   in Loop: Header=BB4_828 Depth=2
	s_or_b64 exec, exec, s[72:73]
	v_add_co_u32_e32 v21, vcc, v21, v42
	v_addc_co_u32_e32 v22, vcc, v22, v43, vcc
	v_add_co_u32_e32 v23, vcc, v23, v42
	v_sub_u32_e32 v10, v10, v25
	v_addc_co_u32_e32 v24, vcc, v24, v43, vcc
	v_cmp_lt_i32_e64 s[62:63], 0, v10
	s_and_saveexec_b64 s[72:73], s[62:63]
	s_cbranch_execz .LBB4_848
; %bb.847:                              ;   in Loop: Header=BB4_828 Depth=2
	flat_load_ushort v31, v[21:22] glc slc
	flat_load_ushort v57, v[21:22] offset:128 glc slc
	flat_load_ushort v61, v[21:22] offset:256 glc slc
	;; [unrolled: 1-line block ×3, first 2 shown]
	flat_load_ushort v26, v[23:24] glc slc
	flat_load_ushort v27, v[23:24] offset:128 glc slc
	flat_load_ushort v35, v[23:24] offset:256 glc slc
	;; [unrolled: 1-line block ×3, first 2 shown]
	v_add_co_u32_e32 v21, vcc, 0x200, v21
	v_addc_co_u32_e32 v22, vcc, 0, v22, vcc
	v_add_co_u32_e32 v23, vcc, 0x200, v23
	v_addc_co_u32_e32 v24, vcc, 0, v24, vcc
.LBB4_848:                              ;   in Loop: Header=BB4_828 Depth=2
	s_or_b64 exec, exec, s[72:73]
	s_waitcnt vmcnt(0) lgkmcnt(0)
	v_lshlrev_b32_e32 v0, 16, v0
	v_lshlrev_b32_e32 v55, 16, v55
	v_add_f32_e32 v55, v0, v55
	v_and_b32_e32 v0, 0x7f800000, v55
	v_cmp_ne_u32_e32 vcc, s37, v0
                                        ; implicit-def: $vgpr0
	s_and_saveexec_b64 s[72:73], vcc
	s_xor_b64 s[72:73], exec, s[72:73]
; %bb.849:                              ;   in Loop: Header=BB4_828 Depth=2
	v_bfe_u32 v0, v55, 16, 1
	v_add3_u32 v0, v55, v0, s38
                                        ; implicit-def: $vgpr55
; %bb.850:                              ;   in Loop: Header=BB4_828 Depth=2
	s_andn2_saveexec_b64 s[72:73], s[72:73]
; %bb.851:                              ;   in Loop: Header=BB4_828 Depth=2
	v_or_b32_e32 v0, 0x10000, v55
	v_cmp_eq_u32_sdwa vcc, v55, v11 src0_sel:WORD_0 src1_sel:DWORD
	v_cndmask_b32_e32 v0, v0, v55, vcc
; %bb.852:                              ;   in Loop: Header=BB4_828 Depth=2
	s_or_b64 exec, exec, s[72:73]
	v_lshlrev_b32_e32 v2, 16, v2
	v_lshlrev_b32_e32 v54, 16, v54
	v_add_f32_e32 v54, v2, v54
	v_and_b32_e32 v2, 0x7f800000, v54
	v_cmp_ne_u32_e32 vcc, s37, v2
                                        ; implicit-def: $vgpr2
	s_and_saveexec_b64 s[72:73], vcc
	s_xor_b64 s[72:73], exec, s[72:73]
; %bb.853:                              ;   in Loop: Header=BB4_828 Depth=2
	v_bfe_u32 v2, v54, 16, 1
	v_add3_u32 v2, v54, v2, s38
                                        ; implicit-def: $vgpr54
; %bb.854:                              ;   in Loop: Header=BB4_828 Depth=2
	s_andn2_saveexec_b64 s[72:73], s[72:73]
; %bb.855:                              ;   in Loop: Header=BB4_828 Depth=2
	v_or_b32_e32 v2, 0x10000, v54
	v_cmp_eq_u32_sdwa vcc, v54, v11 src0_sel:WORD_0 src1_sel:DWORD
	v_cndmask_b32_e32 v2, v2, v54, vcc
; %bb.856:                              ;   in Loop: Header=BB4_828 Depth=2
	s_or_b64 exec, exec, s[72:73]
	v_lshlrev_b32_e32 v28, 16, v28
	v_lshlrev_b32_e32 v54, 16, v44
	v_add_f32_e32 v54, v28, v54
	v_and_b32_e32 v28, 0x7f800000, v54
	v_cmp_ne_u32_e32 vcc, s37, v28
                                        ; implicit-def: $vgpr28
	s_and_saveexec_b64 s[72:73], vcc
	s_xor_b64 s[72:73], exec, s[72:73]
; %bb.857:                              ;   in Loop: Header=BB4_828 Depth=2
	v_bfe_u32 v28, v54, 16, 1
	v_add3_u32 v28, v54, v28, s38
                                        ; implicit-def: $vgpr54
; %bb.858:                              ;   in Loop: Header=BB4_828 Depth=2
	s_andn2_saveexec_b64 s[72:73], s[72:73]
; %bb.859:                              ;   in Loop: Header=BB4_828 Depth=2
	v_or_b32_e32 v28, 0x10000, v54
	v_cmp_eq_u32_sdwa vcc, v54, v11 src0_sel:WORD_0 src1_sel:DWORD
	v_cndmask_b32_e32 v28, v28, v54, vcc
; %bb.860:                              ;   in Loop: Header=BB4_828 Depth=2
	s_or_b64 exec, exec, s[72:73]
	v_lshlrev_b32_e32 v50, 16, v50
	v_lshlrev_b32_e32 v29, 16, v29
	v_add_f32_e32 v50, v50, v29
	v_and_b32_e32 v29, 0x7f800000, v50
	v_cmp_ne_u32_e32 vcc, s37, v29
                                        ; implicit-def: $vgpr29
	s_and_saveexec_b64 s[72:73], vcc
	s_xor_b64 s[72:73], exec, s[72:73]
; %bb.861:                              ;   in Loop: Header=BB4_828 Depth=2
	v_bfe_u32 v29, v50, 16, 1
	v_add3_u32 v29, v50, v29, s38
                                        ; implicit-def: $vgpr50
; %bb.862:                              ;   in Loop: Header=BB4_828 Depth=2
	s_andn2_saveexec_b64 s[72:73], s[72:73]
	s_cbranch_execz .LBB4_827
; %bb.863:                              ;   in Loop: Header=BB4_828 Depth=2
	v_or_b32_e32 v29, 0x10000, v50
	v_cmp_eq_u32_sdwa vcc, v50, v11 src0_sel:WORD_0 src1_sel:DWORD
	v_cndmask_b32_e32 v29, v29, v50, vcc
	s_branch .LBB4_827
.LBB4_864:                              ;   in Loop: Header=BB4_523 Depth=1
	s_or_b64 exec, exec, s[60:61]
	v_lshlrev_b32_e32 v21, 16, v31
	v_lshlrev_b32_e32 v28, 16, v26
	;; [unrolled: 1-line block ×8, first 2 shown]
	s_and_b64 s[58:59], s[58:59], exec
.LBB4_865:                              ;   in Loop: Header=BB4_523 Depth=1
	s_or_b64 exec, exec, s[18:19]
	s_and_saveexec_b64 s[18:19], s[58:59]
	s_cbranch_execz .LBB4_883
; %bb.866:                              ;   in Loop: Header=BB4_523 Depth=1
	v_add_f32_e32 v27, v28, v21
	v_and_b32_e32 v21, 0x7f800000, v27
	v_cmp_ne_u32_e32 vcc, s37, v21
                                        ; implicit-def: $vgpr21
	s_and_saveexec_b64 s[58:59], vcc
	s_xor_b64 s[58:59], exec, s[58:59]
; %bb.867:                              ;   in Loop: Header=BB4_523 Depth=1
	v_bfe_u32 v21, v27, 16, 1
	v_add3_u32 v21, v27, v21, s38
                                        ; implicit-def: $vgpr27
; %bb.868:                              ;   in Loop: Header=BB4_523 Depth=1
	s_andn2_saveexec_b64 s[58:59], s[58:59]
; %bb.869:                              ;   in Loop: Header=BB4_523 Depth=1
	v_or_b32_e32 v21, 0x10000, v27
	v_cmp_eq_u32_sdwa vcc, v27, v11 src0_sel:WORD_0 src1_sel:DWORD
	v_cndmask_b32_e32 v21, v21, v27, vcc
; %bb.870:                              ;   in Loop: Header=BB4_523 Depth=1
	s_or_b64 exec, exec, s[58:59]
	v_add_f32_e32 v26, v26, v24
	v_and_b32_e32 v24, 0x7f800000, v26
	v_cmp_ne_u32_e32 vcc, s37, v24
                                        ; implicit-def: $vgpr24
	s_and_saveexec_b64 s[58:59], vcc
	s_xor_b64 s[58:59], exec, s[58:59]
; %bb.871:                              ;   in Loop: Header=BB4_523 Depth=1
	v_bfe_u32 v24, v26, 16, 1
	v_add3_u32 v24, v26, v24, s38
                                        ; implicit-def: $vgpr26
; %bb.872:                              ;   in Loop: Header=BB4_523 Depth=1
	s_andn2_saveexec_b64 s[58:59], s[58:59]
; %bb.873:                              ;   in Loop: Header=BB4_523 Depth=1
	v_or_b32_e32 v24, 0x10000, v26
	v_cmp_eq_u32_sdwa vcc, v26, v11 src0_sel:WORD_0 src1_sel:DWORD
	v_cndmask_b32_e32 v24, v24, v26, vcc
; %bb.874:                              ;   in Loop: Header=BB4_523 Depth=1
	s_or_b64 exec, exec, s[58:59]
	v_add_f32_e32 v23, v23, v22
	v_and_b32_e32 v22, 0x7f800000, v23
	v_cmp_ne_u32_e32 vcc, s37, v22
                                        ; implicit-def: $vgpr22
	s_and_saveexec_b64 s[58:59], vcc
	s_xor_b64 s[58:59], exec, s[58:59]
; %bb.875:                              ;   in Loop: Header=BB4_523 Depth=1
	v_bfe_u32 v22, v23, 16, 1
	v_add3_u32 v22, v23, v22, s38
                                        ; implicit-def: $vgpr23
; %bb.876:                              ;   in Loop: Header=BB4_523 Depth=1
	s_andn2_saveexec_b64 s[58:59], s[58:59]
; %bb.877:                              ;   in Loop: Header=BB4_523 Depth=1
	v_or_b32_e32 v22, 0x10000, v23
	v_cmp_eq_u32_sdwa vcc, v23, v11 src0_sel:WORD_0 src1_sel:DWORD
	v_cndmask_b32_e32 v22, v22, v23, vcc
; %bb.878:                              ;   in Loop: Header=BB4_523 Depth=1
	s_or_b64 exec, exec, s[58:59]
	v_add_f32_e32 v2, v2, v0
	v_and_b32_e32 v0, 0x7f800000, v2
	v_cmp_ne_u32_e32 vcc, s37, v0
                                        ; implicit-def: $vgpr0
	s_and_saveexec_b64 s[58:59], vcc
	s_xor_b64 s[58:59], exec, s[58:59]
; %bb.879:                              ;   in Loop: Header=BB4_523 Depth=1
	v_bfe_u32 v0, v2, 16, 1
	v_add3_u32 v0, v2, v0, s38
                                        ; implicit-def: $vgpr2
; %bb.880:                              ;   in Loop: Header=BB4_523 Depth=1
	s_andn2_saveexec_b64 s[58:59], s[58:59]
; %bb.881:                              ;   in Loop: Header=BB4_523 Depth=1
	v_or_b32_e32 v0, 0x10000, v2
	v_cmp_eq_u32_sdwa vcc, v2, v11 src0_sel:WORD_0 src1_sel:DWORD
	v_cndmask_b32_e32 v0, v0, v2, vcc
; %bb.882:                              ;   in Loop: Header=BB4_523 Depth=1
	s_or_b64 exec, exec, s[58:59]
	flat_store_short_d16_hi v[19:20], v21 glc slc
	flat_store_short_d16_hi v[19:20], v24 offset:128 glc slc
	flat_store_short_d16_hi v[19:20], v22 offset:256 glc slc
	;; [unrolled: 1-line block ×3, first 2 shown]
.LBB4_883:                              ;   in Loop: Header=BB4_523 Depth=1
	s_or_b64 exec, exec, s[18:19]
	v_lshlrev_b32_e32 v0, 9, v3
	v_cmp_ne_u32_e32 vcc, v1, v0
	s_and_b64 s[18:19], exec, vcc
	v_lshlrev_b32_e32 v23, 7, v25
	s_mov_b64 exec, s[18:19]
	s_cbranch_execz .LBB4_908
; %bb.884:                              ;   in Loop: Header=BB4_523 Depth=1
	v_lshlrev_b32_e32 v2, 6, v10
	v_sub_u32_e32 v2, v34, v2
	v_ashrrev_i32_e32 v3, 31, v2
	v_lshrrev_b32_e32 v3, 26, v3
	v_add_u32_e32 v3, v2, v3
	v_and_b32_e32 v10, 0x7fffffc0, v3
	v_sub_u32_e32 v2, v2, v10
	v_lshlrev_b32_e32 v3, 1, v3
	v_and_b32_e32 v3, 0xffffff80, v3
	v_lshlrev_b32_e32 v2, 1, v2
	v_add3_u32 v2, v3, v2, v0
	v_sub_u32_e32 v0, v1, v2
	v_cmp_lt_i32_e32 vcc, 1, v0
	s_and_b64 exec, exec, vcc
	s_cbranch_execz .LBB4_908
; %bb.885:                              ;   in Loop: Header=BB4_523 Depth=1
	s_trap 2
	ds_read_b64 v[19:20], v0
	buffer_load_dword v26, off, s[0:3], s33 offset:212 ; 4-byte Folded Reload
	buffer_load_dword v27, off, s[0:3], s33 offset:228 ; 4-byte Folded Reload
	v_add_u32_e32 v1, v2, v30
	v_ashrrev_i32_e32 v21, 31, v1
	v_add_co_u32_e32 v17, vcc, v17, v1
	v_addc_co_u32_e32 v18, vcc, v18, v21, vcc
	v_add_co_u32_e32 v10, vcc, v1, v15
	v_addc_co_u32_e32 v3, vcc, v21, v16, vcc
	s_waitcnt lgkmcnt(0)
	v_add_co_u32_e32 v2, vcc, v19, v1
	v_addc_co_u32_e32 v1, vcc, v20, v21, vcc
	s_mov_b64 s[62:63], 0
	s_mov_b64 s[58:59], 0
	v_ashrrev_i32_e32 v24, 31, v41
                                        ; implicit-def: $sgpr60_sgpr61
	s_branch .LBB4_887
.LBB4_886:                              ;   in Loop: Header=BB4_887 Depth=2
	s_or_b64 exec, exec, s[18:19]
	v_lshrrev_b32_e32 v15, 16, v16
	buffer_store_short v15, off, s[0:3], s33 offset:64
	flat_store_short v[17:18], v15 glc slc
	v_add_co_u32_e32 v15, vcc, v10, v41
	v_addc_co_u32_e32 v16, vcc, v3, v24, vcc
	v_add_co_u32_e32 v19, vcc, v2, v41
	v_mov_b32_e32 v22, 0x80
	v_addc_co_u32_e32 v20, vcc, v1, v24, vcc
	v_cndmask_b32_e64 v22, v22, v26, s[62:63]
	v_cndmask_b32_e64 v21, 0, v27, s[62:63]
	v_add_co_u32_e32 v17, vcc, v17, v22
	v_cndmask_b32_e64 v10, v10, v15, s[62:63]
	v_cndmask_b32_e64 v15, 0, v23, s[62:63]
	v_addc_co_u32_e32 v18, vcc, v18, v21, vcc
	v_sub_u32_e32 v0, v0, v15
	v_cmp_gt_i32_e32 vcc, 2, v0
	s_or_b64 s[58:59], vcc, s[58:59]
	s_andn2_b64 s[18:19], s[60:61], exec
	s_and_b64 s[60:61], s[62:63], exec
	v_cndmask_b32_e64 v1, v1, v20, s[62:63]
	v_cndmask_b32_e64 v2, v2, v19, s[62:63]
	;; [unrolled: 1-line block ×3, first 2 shown]
	s_or_b64 s[60:61], s[18:19], s[60:61]
	s_andn2_b64 exec, exec, s[58:59]
	s_cbranch_execz .LBB4_902
.LBB4_887:                              ;   Parent Loop BB4_523 Depth=1
                                        ; =>  This Loop Header: Depth=2
                                        ;       Child Loop BB4_888 Depth 3
                                        ;       Child Loop BB4_897 Depth 3
	s_lshr_b32 s76, s33, 6
	s_add_i32 s76, s76, 64
	s_mov_b64 s[72:73], -1
	s_mov_b64 s[74:75], 0
.LBB4_888:                              ;   Parent Loop BB4_523 Depth=1
                                        ;     Parent Loop BB4_887 Depth=2
                                        ; =>    This Inner Loop Header: Depth=3
	s_cmp_eq_u32 s74, 1
	s_cselect_b64 s[18:19], -1, 0
	v_cndmask_b32_e64 v16, v3, v1, s[18:19]
	v_cndmask_b32_e64 v15, v10, v2, s[18:19]
	flat_load_ushort v19, v[15:16] glc slc
	v_add_co_u32_e32 v15, vcc, 0x80, v15
	v_addc_co_u32_e32 v16, vcc, 0, v16, vcc
	s_cmp_eq_u32 s74, 0
	v_mov_b32_e32 v20, s76
	s_cselect_b64 vcc, -1, 0
	s_lshr_b32 s76, s33, 6
	s_addk_i32 s76, 0x60
	v_cndmask_b32_e64 v1, v1, v16, s[18:19]
	v_cndmask_b32_e64 v2, v2, v15, s[18:19]
	v_cndmask_b32_e32 v3, v3, v16, vcc
	v_cndmask_b32_e32 v10, v10, v15, vcc
	s_mov_b64 s[74:75], 1
	s_and_b64 vcc, exec, s[72:73]
	s_mov_b64 s[72:73], 0
	s_waitcnt vmcnt(0) lgkmcnt(0)
	buffer_store_short v19, v20, s[0:3], 0 offen
	s_cbranch_vccnz .LBB4_888
; %bb.889:                              ;   in Loop: Header=BB4_887 Depth=2
	s_and_saveexec_b64 s[18:19], s[62:63]
	s_cbranch_execz .LBB4_895
; %bb.890:                              ;   in Loop: Header=BB4_887 Depth=2
	buffer_load_ushort v15, off, s[0:3], s33 offset:62
	buffer_load_ushort v16, off, s[0:3], s33 offset:60
	s_waitcnt vmcnt(1)
	v_lshlrev_b32_e32 v15, 16, v15
	s_waitcnt vmcnt(0)
	v_lshlrev_b32_e32 v16, 16, v16
	v_add_f32_e32 v15, v16, v15
	v_and_b32_e32 v16, 0x7f800000, v15
	v_cmp_ne_u32_e32 vcc, s37, v16
                                        ; implicit-def: $vgpr16
	s_and_saveexec_b64 s[62:63], vcc
	s_xor_b64 s[62:63], exec, s[62:63]
; %bb.891:                              ;   in Loop: Header=BB4_887 Depth=2
	v_bfe_u32 v16, v15, 16, 1
	v_add3_u32 v16, v15, v16, s38
                                        ; implicit-def: $vgpr15
; %bb.892:                              ;   in Loop: Header=BB4_887 Depth=2
	s_andn2_saveexec_b64 s[62:63], s[62:63]
; %bb.893:                              ;   in Loop: Header=BB4_887 Depth=2
	v_or_b32_e32 v16, 0x10000, v15
	v_cmp_eq_u32_sdwa vcc, v15, v11 src0_sel:WORD_0 src1_sel:DWORD
	v_cndmask_b32_e32 v16, v16, v15, vcc
; %bb.894:                              ;   in Loop: Header=BB4_887 Depth=2
	s_or_b64 exec, exec, s[62:63]
	v_lshrrev_b32_e32 v15, 16, v16
	flat_store_short v[17:18], v15 glc slc
	v_add_co_u32_e32 v17, vcc, v17, v26
	v_addc_co_u32_e32 v18, vcc, v18, v27, vcc
	buffer_store_short v15, off, s[0:3], s33 offset:60
.LBB4_895:                              ;   in Loop: Header=BB4_887 Depth=2
	s_or_b64 exec, exec, s[18:19]
	v_add_co_u32_e32 v10, vcc, v10, v41
	v_addc_co_u32_e32 v3, vcc, v3, v24, vcc
	v_add_co_u32_e32 v2, vcc, v2, v41
	v_sub_u32_e32 v0, v0, v23
	v_addc_co_u32_e32 v1, vcc, v1, v24, vcc
	v_cmp_lt_i32_e64 s[62:63], 1, v0
	s_and_saveexec_b64 s[72:73], s[62:63]
	s_cbranch_execz .LBB4_898
; %bb.896:                              ;   in Loop: Header=BB4_887 Depth=2
	s_lshr_b32 s78, s33, 6
	s_add_i32 s78, s78, 60
	s_mov_b64 s[76:77], 0
	s_mov_b64 s[74:75], -1
.LBB4_897:                              ;   Parent Loop BB4_523 Depth=1
                                        ;     Parent Loop BB4_887 Depth=2
                                        ; =>    This Inner Loop Header: Depth=3
	s_cmp_eq_u32 s76, 1
	s_cselect_b64 s[18:19], -1, 0
	v_cndmask_b32_e64 v16, v3, v1, s[18:19]
	v_cndmask_b32_e64 v15, v10, v2, s[18:19]
	flat_load_ushort v19, v[15:16] glc slc
	v_add_co_u32_e32 v15, vcc, 0x80, v15
	v_addc_co_u32_e32 v16, vcc, 0, v16, vcc
	s_cmp_eq_u32 s76, 0
	v_mov_b32_e32 v20, s78
	s_cselect_b64 vcc, -1, 0
	s_lshr_b32 s78, s33, 6
	s_add_i32 s78, s78, 62
	v_cndmask_b32_e32 v3, v3, v16, vcc
	v_cndmask_b32_e32 v10, v10, v15, vcc
	v_cndmask_b32_e64 v1, v1, v16, s[18:19]
	v_cndmask_b32_e64 v2, v2, v15, s[18:19]
	s_mov_b64 s[76:77], 1
	s_and_b64 vcc, exec, s[74:75]
	s_mov_b64 s[74:75], 0
	s_waitcnt vmcnt(0) lgkmcnt(0)
	buffer_store_short v19, v20, s[0:3], 0 offen
	s_cbranch_vccnz .LBB4_897
.LBB4_898:                              ;   in Loop: Header=BB4_887 Depth=2
	s_or_b64 exec, exec, s[72:73]
	buffer_load_ushort v15, off, s[0:3], s33 offset:96
	buffer_load_ushort v16, off, s[0:3], s33 offset:64
	s_waitcnt vmcnt(0)
	v_lshlrev_b32_e32 v15, 16, v15
	v_lshlrev_b32_e32 v16, 16, v16
	v_add_f32_e32 v15, v16, v15
	v_and_b32_e32 v16, 0x7f800000, v15
	v_cmp_ne_u32_e32 vcc, s37, v16
                                        ; implicit-def: $vgpr16
	s_and_saveexec_b64 s[18:19], vcc
	s_xor_b64 s[18:19], exec, s[18:19]
; %bb.899:                              ;   in Loop: Header=BB4_887 Depth=2
	v_bfe_u32 v16, v15, 16, 1
	v_add3_u32 v16, v15, v16, s38
                                        ; implicit-def: $vgpr15
; %bb.900:                              ;   in Loop: Header=BB4_887 Depth=2
	s_andn2_saveexec_b64 s[18:19], s[18:19]
	s_cbranch_execz .LBB4_886
; %bb.901:                              ;   in Loop: Header=BB4_887 Depth=2
	v_or_b32_e32 v16, 0x10000, v15
	v_cmp_eq_u32_sdwa vcc, v15, v11 src0_sel:WORD_0 src1_sel:DWORD
	v_cndmask_b32_e32 v16, v16, v15, vcc
	s_branch .LBB4_886
.LBB4_902:                              ;   in Loop: Header=BB4_523 Depth=1
	s_or_b64 exec, exec, s[58:59]
	s_and_b64 exec, exec, s[60:61]
	s_cbranch_execz .LBB4_908
; %bb.903:                              ;   in Loop: Header=BB4_523 Depth=1
	buffer_load_ushort v0, off, s[0:3], s33 offset:62
	buffer_load_ushort v1, off, s[0:3], s33 offset:60
	s_waitcnt vmcnt(0)
	v_lshlrev_b32_e32 v0, 16, v0
	v_lshlrev_b32_e32 v1, 16, v1
	v_add_f32_e32 v0, v1, v0
	v_and_b32_e32 v1, 0x7f800000, v0
	v_cmp_ne_u32_e32 vcc, s37, v1
                                        ; implicit-def: $vgpr1
	s_and_saveexec_b64 s[18:19], vcc
	s_xor_b64 s[18:19], exec, s[18:19]
; %bb.904:                              ;   in Loop: Header=BB4_523 Depth=1
	v_bfe_u32 v1, v0, 16, 1
	v_add3_u32 v1, v0, v1, s38
                                        ; implicit-def: $vgpr0
; %bb.905:                              ;   in Loop: Header=BB4_523 Depth=1
	s_andn2_saveexec_b64 s[18:19], s[18:19]
; %bb.906:                              ;   in Loop: Header=BB4_523 Depth=1
	v_or_b32_e32 v1, 0x10000, v0
	v_cmp_eq_u32_sdwa vcc, v0, v11 src0_sel:WORD_0 src1_sel:DWORD
	v_cndmask_b32_e32 v1, v1, v0, vcc
; %bb.907:                              ;   in Loop: Header=BB4_523 Depth=1
	s_or_b64 exec, exec, s[18:19]
	flat_store_short_d16_hi v[17:18], v1 glc slc
.LBB4_908:                              ;   in Loop: Header=BB4_523 Depth=1
	s_or_b64 exec, exec, s[20:21]
	buffer_load_dword v0, off, s[0:3], s33 offset:172 ; 4-byte Folded Reload
	buffer_load_dword v24, off, s[0:3], s33 offset:188 ; 4-byte Folded Reload
	v_mov_b32_e32 v29, v5
	v_mov_b32_e32 v30, v48
	;; [unrolled: 1-line block ×4, first 2 shown]
	s_waitcnt vmcnt(0)
	v_cmp_ne_u32_e64 s[18:19], 0, v0
	s_and_saveexec_b64 s[20:21], s[10:11]
	s_cbranch_execz .LBB4_927
.LBB4_909:                              ;   in Loop: Header=BB4_523 Depth=1
	s_and_saveexec_b64 s[58:59], s[40:41]
	s_xor_b64 s[58:59], exec, s[58:59]
	s_cbranch_execz .LBB4_924
; %bb.910:                              ;   in Loop: Header=BB4_523 Depth=1
	s_and_saveexec_b64 s[60:61], s[12:13]
	s_cbranch_execz .LBB4_923
; %bb.911:                              ;   in Loop: Header=BB4_523 Depth=1
	s_mov_b64 s[72:73], exec
	v_mbcnt_lo_u32_b32 v0, s72, 0
	v_mbcnt_hi_u32_b32 v0, s73, v0
	v_cmp_eq_u32_e32 vcc, 0, v0
	s_waitcnt vmcnt(0) lgkmcnt(0)
	buffer_wbinvl1_vol
	s_and_saveexec_b64 s[62:63], vcc
	s_cbranch_execz .LBB4_913
; %bb.912:                              ;   in Loop: Header=BB4_523 Depth=1
	s_bcnt1_i32_b64 s72, s[72:73]
	v_mov_b32_e32 v10, s72
	ds_add_u64 v0, v[10:11]
	s_trap 2
.LBB4_913:                              ;   in Loop: Header=BB4_523 Depth=1
	s_or_b64 exec, exec, s[62:63]
	s_trap 2
	ds_read_b64 v[0:1], v0
	s_waitcnt lgkmcnt(0)
	v_add_co_u32_e32 v38, vcc, v38, v25
	v_addc_co_u32_e32 v39, vcc, 0, v39, vcc
	v_cmp_lt_u64_e32 vcc, v[0:1], v[38:39]
	s_and_saveexec_b64 s[62:63], vcc
	s_cbranch_execz .LBB4_922
; %bb.914:                              ;   in Loop: Header=BB4_523 Depth=1
	s_mov_b32 s92, 0
	s_mov_b64 s[72:73], 0
                                        ; implicit-def: $sgpr74_sgpr75
                                        ; implicit-def: $sgpr76_sgpr77
	s_branch .LBB4_916
.LBB4_915:                              ;   in Loop: Header=BB4_916 Depth=2
	s_or_b64 exec, exec, s[88:89]
	s_and_b64 s[78:79], exec, s[90:91]
	s_or_b64 s[72:73], s[78:79], s[72:73]
	s_andn2_b64 s[74:75], s[74:75], exec
	s_and_b64 s[78:79], s[76:77], exec
	s_or_b64 s[74:75], s[74:75], s[78:79]
	s_andn2_b64 exec, exec, s[72:73]
	s_cbranch_execz .LBB4_920
.LBB4_916:                              ;   Parent Loop BB4_523 Depth=1
                                        ; =>  This Inner Loop Header: Depth=2
	s_add_i32 s92, s92, 1
	s_cmpk_lg_i32 s92, 0x2710
	s_cselect_b64 s[78:79], -1, 0
	s_and_b64 vcc, exec, s[78:79]
	s_cbranch_vccz .LBB4_918
; %bb.917:                              ;   in Loop: Header=BB4_916 Depth=2
	s_mov_b64 s[90:91], -1
	s_or_b64 s[76:77], s[76:77], exec
	s_and_saveexec_b64 s[88:89], s[78:79]
	s_cbranch_execz .LBB4_915
	s_branch .LBB4_919
.LBB4_918:                              ;   in Loop: Header=BB4_916 Depth=2
	s_trap 2
	ds_read_b64 v[0:1], v0
	s_andn2_b64 s[78:79], s[78:79], exec
	s_mov_b32 s92, 0
	s_waitcnt lgkmcnt(0)
	flat_load_dword v0, v[0:1] glc
	s_waitcnt vmcnt(0) lgkmcnt(0)
	buffer_wbinvl1_vol
	v_cmp_eq_u32_e32 vcc, 0, v0
	s_and_b64 s[88:89], vcc, exec
	s_or_b64 s[78:79], s[78:79], s[88:89]
	s_mov_b64 s[90:91], -1
	s_or_b64 s[76:77], s[76:77], exec
	s_and_saveexec_b64 s[88:89], s[78:79]
	s_cbranch_execz .LBB4_915
.LBB4_919:                              ;   in Loop: Header=BB4_916 Depth=2
	s_sleep 1
	s_trap 2
	ds_read_b64 v[0:1], v0
	s_waitcnt lgkmcnt(0)
	s_andn2_b64 s[76:77], s[76:77], exec
	v_cmp_ge_u64_e32 vcc, v[0:1], v[38:39]
	s_orn2_b64 s[90:91], vcc, exec
	s_branch .LBB4_915
.LBB4_920:                              ;   in Loop: Header=BB4_523 Depth=1
	s_or_b64 exec, exec, s[72:73]
	s_and_saveexec_b64 s[72:73], s[74:75]
	s_xor_b64 s[72:73], exec, s[72:73]
	s_cbranch_execz .LBB4_922
; %bb.921:                              ;   in Loop: Header=BB4_523 Depth=1
	v_mov_b32_e32 v0, 1
	ds_write_b32 v0, v0
	s_trap 2
.LBB4_922:                              ;   in Loop: Header=BB4_523 Depth=1
	s_or_b64 exec, exec, s[62:63]
	;;#ASMSTART
	s_wakeup
	;;#ASMEND
.LBB4_923:                              ;   in Loop: Header=BB4_523 Depth=1
	s_or_b64 exec, exec, s[60:61]
.LBB4_924:                              ;   in Loop: Header=BB4_523 Depth=1
	s_andn2_saveexec_b64 s[58:59], s[58:59]
	s_cbranch_execz .LBB4_926
; %bb.925:                              ;   in Loop: Header=BB4_523 Depth=1
	s_waitcnt vmcnt(0) lgkmcnt(0)
	buffer_wbinvl1_vol
	s_barrier
.LBB4_926:                              ;   in Loop: Header=BB4_523 Depth=1
	s_or_b64 exec, exec, s[58:59]
.LBB4_927:                              ;   in Loop: Header=BB4_523 Depth=1
	s_or_b64 exec, exec, s[20:21]
	v_and_b32_e32 v0, 16, v62
	v_cmp_ne_u32_e32 vcc, 0, v0
	s_and_b64 s[20:21], vcc, s[18:19]
	s_and_saveexec_b64 s[18:19], s[20:21]
	s_cbranch_execz .LBB4_929
; %bb.928:                              ;   in Loop: Header=BB4_523 Depth=1
	s_waitcnt vmcnt(0) lgkmcnt(0)
	buffer_wbinvl1_vol
.LBB4_929:                              ;   in Loop: Header=BB4_523 Depth=1
	s_or_b64 exec, exec, s[18:19]
	v_and_b32_e32 v0, 32, v62
	v_cmp_ne_u32_e32 vcc, 0, v0
	s_and_saveexec_b64 s[18:19], vcc
	s_cbranch_execz .LBB4_931
; %bb.930:                              ;   in Loop: Header=BB4_523 Depth=1
	v_mov_b32_e32 v0, v6
	v_mov_b32_e32 v2, v8
	;; [unrolled: 1-line block ×3, first 2 shown]
	v_add_co_u32_e32 v2, vcc, 1, v2
	v_addc_co_u32_e32 v3, vcc, 0, v3, vcc
	v_mov_b32_e32 v1, v7
	v_mov_b32_e32 v9, v3
	;; [unrolled: 1-line block ×5, first 2 shown]
	flat_store_dwordx2 v[32:33], v[2:3]
.LBB4_931:                              ;   in Loop: Header=BB4_523 Depth=1
	s_or_b64 exec, exec, s[18:19]
	v_mov_b32_e32 v1, v58
.LBB4_932:                              ;   in Loop: Header=BB4_523 Depth=1
	s_or_b64 exec, exec, s[56:57]
	s_and_saveexec_b64 s[20:21], s[46:47]
	s_cbranch_execz .LBB4_522
; %bb.933:                              ;   in Loop: Header=BB4_523 Depth=1
	v_and_b32_e32 v0, 4, v62
	v_cmp_ne_u32_e32 vcc, 0, v0
	s_and_saveexec_b64 s[46:47], vcc
	s_cbranch_execz .LBB4_955
; %bb.934:                              ;   in Loop: Header=BB4_523 Depth=1
	v_mov_b32_e32 v18, v9
	v_mov_b32_e32 v17, v8
	;; [unrolled: 1-line block ×4, first 2 shown]
	v_add_co_u32_e32 v15, vcc, 1, v17
	v_addc_co_u32_e32 v16, vcc, 0, v18, vcc
	v_cmp_lt_u64_e32 vcc, v[36:37], v[15:16]
	s_and_saveexec_b64 s[56:57], vcc
	s_cbranch_execz .LBB4_946
; %bb.935:                              ;   in Loop: Header=BB4_523 Depth=1
	v_and_b32_e32 v0, 64, v62
	s_mov_b32 s92, 0
	v_cmp_eq_u32_e32 vcc, 0, v0
	s_mov_b64 s[58:59], 0
                                        ; implicit-def: $sgpr60_sgpr61
                                        ; implicit-def: $sgpr62_sgpr63
                                        ; implicit-def: $sgpr72_sgpr73
	s_branch .LBB4_939
.LBB4_936:                              ;   in Loop: Header=BB4_939 Depth=2
	s_waitcnt vmcnt(0) lgkmcnt(0)
	v_cmp_ge_u64_e64 s[18:19], v[36:37], v[15:16]
	s_or_b64 s[78:79], s[78:79], exec
	s_orn2_b64 s[76:77], s[18:19], exec
.LBB4_937:                              ;   in Loop: Header=BB4_939 Depth=2
	s_or_b64 exec, exec, s[90:91]
	s_andn2_b64 s[18:19], s[72:73], exec
	s_and_b64 s[72:73], s[78:79], exec
	s_or_b64 s[72:73], s[18:19], s[72:73]
	s_andn2_b64 s[18:19], s[62:63], exec
	s_and_b64 s[62:63], s[76:77], exec
	s_or_b64 s[62:63], s[18:19], s[62:63]
.LBB4_938:                              ;   in Loop: Header=BB4_939 Depth=2
	s_or_b64 exec, exec, s[74:75]
	s_and_b64 s[18:19], exec, s[62:63]
	s_or_b64 s[58:59], s[18:19], s[58:59]
	s_andn2_b64 s[18:19], s[60:61], exec
	s_and_b64 s[60:61], s[72:73], exec
	s_or_b64 s[60:61], s[18:19], s[60:61]
	s_andn2_b64 exec, exec, s[58:59]
	s_cbranch_execz .LBB4_943
.LBB4_939:                              ;   Parent Loop BB4_523 Depth=1
                                        ; =>  This Inner Loop Header: Depth=2
	s_sleep 1
	s_waitcnt vmcnt(0) lgkmcnt(0)
	flat_load_dwordx2 v[36:37], v[32:33] glc
	s_or_b64 s[72:73], s[72:73], exec
	s_or_b64 s[62:63], s[62:63], exec
                                        ; implicit-def: $vgpr0
	s_and_saveexec_b64 s[74:75], vcc
	s_cbranch_execz .LBB4_938
; %bb.940:                              ;   in Loop: Header=BB4_939 Depth=2
	s_cmpk_lt_i32 s92, 0x270f
	s_cselect_b64 s[88:89], -1, 0
	s_cmpk_gt_i32 s92, 0x270e
	s_mov_b64 s[76:77], -1
	s_cbranch_scc0 .LBB4_942
; %bb.941:                              ;   in Loop: Header=BB4_939 Depth=2
	s_trap 2
	ds_read_b64 v[2:3], v0
	s_andn2_b64 s[88:89], s[88:89], exec
	s_mov_b32 s92, 0
	s_mov_b64 s[78:79], 0
	s_waitcnt vmcnt(0) lgkmcnt(0)
	flat_load_dword v0, v[2:3] glc
	s_waitcnt vmcnt(0) lgkmcnt(0)
	buffer_wbinvl1_vol
	v_cmp_eq_u32_e64 s[18:19], 0, v0
	s_and_b64 s[18:19], s[18:19], exec
	s_or_b64 s[88:89], s[88:89], s[18:19]
	s_and_saveexec_b64 s[90:91], s[88:89]
	s_cbranch_execz .LBB4_937
	s_branch .LBB4_936
.LBB4_942:                              ;   in Loop: Header=BB4_939 Depth=2
	s_add_i32 s92, s92, 1
	s_mov_b64 s[78:79], -1
                                        ; implicit-def: $vgpr0
	s_and_saveexec_b64 s[90:91], s[88:89]
	s_cbranch_execz .LBB4_937
	s_branch .LBB4_936
.LBB4_943:                              ;   in Loop: Header=BB4_523 Depth=1
	s_or_b64 exec, exec, s[58:59]
	s_xor_b64 s[18:19], s[60:61], -1
	s_and_saveexec_b64 s[58:59], s[18:19]
	s_xor_b64 s[18:19], exec, s[58:59]
	s_cbranch_execz .LBB4_945
; %bb.944:                              ;   in Loop: Header=BB4_523 Depth=1
	v_or_b32_e32 v62, 64, v62
	s_waitcnt lgkmcnt(0)
	ds_write_b32 v0, v0
	s_trap 2
.LBB4_945:                              ;   in Loop: Header=BB4_523 Depth=1
	s_or_b64 exec, exec, s[18:19]
.LBB4_946:                              ;   in Loop: Header=BB4_523 Depth=1
	s_or_b64 exec, exec, s[56:57]
	v_and_b32_e32 v0, 0x100, v62
	v_cmp_ne_u32_e32 vcc, 0, v0
	v_and_b32_e32 v0, 7, v8
	s_mov_b64 s[18:19], -1
	;;#ASMSTART
	s_wakeup
	;;#ASMEND
                                        ; implicit-def: $vgpr2_vgpr3
	s_and_saveexec_b64 s[56:57], vcc
	s_cbranch_execz .LBB4_950
; %bb.947:                              ;   in Loop: Header=BB4_523 Depth=1
	v_mad_u64_u32 v[8:9], s[18:19], v0, 24, v[6:7]
	flat_load_dword v2, v[8:9]
	s_waitcnt vmcnt(0) lgkmcnt(0)
	v_cmp_ne_u32_e32 vcc, 1, v2
	v_cmp_eq_u32_e64 s[18:19], 1, v2
                                        ; implicit-def: $vgpr2_vgpr3
	s_and_saveexec_b64 s[58:59], s[18:19]
	s_cbranch_execz .LBB4_949
; %bb.948:                              ;   in Loop: Header=BB4_523 Depth=1
	flat_load_dword v2, v[8:9] offset:4 glc
	s_waitcnt vmcnt(0) lgkmcnt(0)
	v_ashrrev_i32_e32 v3, 31, v2
	v_lshrrev_b64 v[2:3], 1, v[2:3]
.LBB4_949:                              ;   in Loop: Header=BB4_523 Depth=1
	s_or_b64 exec, exec, s[58:59]
	s_orn2_b64 s[18:19], vcc, exec
.LBB4_950:                              ;   in Loop: Header=BB4_523 Depth=1
	s_or_b64 exec, exec, s[56:57]
	s_and_saveexec_b64 s[56:57], s[18:19]
	s_cbranch_execz .LBB4_952
; %bb.951:                              ;   in Loop: Header=BB4_523 Depth=1
	buffer_load_dword v2, off, s[0:3], s33 offset:168 ; 4-byte Folded Reload
	s_waitcnt vmcnt(0)
	v_mad_i64_i32 v[2:3], s[18:19], v0, v2, 0
.LBB4_952:                              ;   in Loop: Header=BB4_523 Depth=1
	s_or_b64 exec, exec, s[56:57]
	buffer_load_dword v8, off, s[0:3], s33 offset:128 ; 4-byte Folded Reload
	buffer_load_dword v9, off, s[0:3], s33 offset:132 ; 4-byte Folded Reload
	v_lshlrev_b64 v[2:3], 1, v[2:3]
	s_waitcnt vmcnt(0)
	v_add_co_u32_e32 v2, vcc, v8, v2
	v_addc_co_u32_e32 v3, vcc, v9, v3, vcc
	ds_write_b64 v0, v[2:3] offset:728
	v_and_b32_e32 v0, 0x2000, v62
	v_cmp_ne_u32_e32 vcc, 0, v0
	s_and_saveexec_b64 s[18:19], vcc
	s_cbranch_execz .LBB4_954
; %bb.953:                              ;   in Loop: Header=BB4_523 Depth=1
	ds_read_b64 v[2:3], v0 offset:872
	s_waitcnt lgkmcnt(0)
	v_add_co_u32_e32 v2, vcc, 1, v2
	v_addc_co_u32_e32 v3, vcc, 0, v3, vcc
	ds_write_b64 v0, v[2:3] offset:872
.LBB4_954:                              ;   in Loop: Header=BB4_523 Depth=1
	s_or_b64 exec, exec, s[18:19]
	v_mov_b32_e32 v8, v15
	v_mov_b32_e32 v9, v16
.LBB4_955:                              ;   in Loop: Header=BB4_523 Depth=1
	s_or_b64 exec, exec, s[46:47]
	s_and_saveexec_b64 s[18:19], s[10:11]
	s_cbranch_execz .LBB4_974
; %bb.956:                              ;   in Loop: Header=BB4_523 Depth=1
	s_and_saveexec_b64 s[46:47], s[40:41]
	s_xor_b64 s[46:47], exec, s[46:47]
	s_cbranch_execz .LBB4_971
; %bb.957:                              ;   in Loop: Header=BB4_523 Depth=1
	s_and_saveexec_b64 s[56:57], s[12:13]
	s_cbranch_execz .LBB4_970
; %bb.958:                              ;   in Loop: Header=BB4_523 Depth=1
	s_mov_b64 s[60:61], exec
	v_mbcnt_lo_u32_b32 v0, s60, 0
	v_mbcnt_hi_u32_b32 v0, s61, v0
	v_cmp_eq_u32_e32 vcc, 0, v0
	s_waitcnt vmcnt(0) lgkmcnt(0)
	buffer_wbinvl1_vol
	s_and_saveexec_b64 s[58:59], vcc
	s_cbranch_execz .LBB4_960
; %bb.959:                              ;   in Loop: Header=BB4_523 Depth=1
	s_bcnt1_i32_b64 s60, s[60:61]
	v_mov_b32_e32 v10, s60
	ds_add_u64 v0, v[10:11]
	s_trap 2
.LBB4_960:                              ;   in Loop: Header=BB4_523 Depth=1
	s_or_b64 exec, exec, s[58:59]
	s_trap 2
	ds_read_b64 v[2:3], v0
	s_waitcnt lgkmcnt(0)
	v_add_co_u32_e32 v38, vcc, v38, v25
	v_addc_co_u32_e32 v39, vcc, 0, v39, vcc
	v_cmp_lt_u64_e32 vcc, v[2:3], v[38:39]
	s_and_saveexec_b64 s[58:59], vcc
	s_cbranch_execz .LBB4_969
; %bb.961:                              ;   in Loop: Header=BB4_523 Depth=1
	s_mov_b32 s88, 0
	s_mov_b64 s[60:61], 0
                                        ; implicit-def: $sgpr62_sgpr63
                                        ; implicit-def: $sgpr72_sgpr73
	s_branch .LBB4_963
.LBB4_962:                              ;   in Loop: Header=BB4_963 Depth=2
	s_or_b64 exec, exec, s[76:77]
	s_and_b64 s[74:75], exec, s[78:79]
	s_or_b64 s[60:61], s[74:75], s[60:61]
	s_andn2_b64 s[62:63], s[62:63], exec
	s_and_b64 s[74:75], s[72:73], exec
	s_or_b64 s[62:63], s[62:63], s[74:75]
	s_andn2_b64 exec, exec, s[60:61]
	s_cbranch_execz .LBB4_967
.LBB4_963:                              ;   Parent Loop BB4_523 Depth=1
                                        ; =>  This Inner Loop Header: Depth=2
	s_add_i32 s88, s88, 1
	s_cmpk_lg_i32 s88, 0x2710
	s_cselect_b64 s[74:75], -1, 0
	s_and_b64 vcc, exec, s[74:75]
	s_cbranch_vccz .LBB4_965
; %bb.964:                              ;   in Loop: Header=BB4_963 Depth=2
	s_mov_b64 s[78:79], -1
	s_or_b64 s[72:73], s[72:73], exec
	s_and_saveexec_b64 s[76:77], s[74:75]
	s_cbranch_execz .LBB4_962
	s_branch .LBB4_966
.LBB4_965:                              ;   in Loop: Header=BB4_963 Depth=2
	s_trap 2
	ds_read_b64 v[2:3], v0
	s_andn2_b64 s[74:75], s[74:75], exec
	s_mov_b32 s88, 0
	s_waitcnt lgkmcnt(0)
	flat_load_dword v0, v[2:3] glc
	s_waitcnt vmcnt(0) lgkmcnt(0)
	buffer_wbinvl1_vol
	v_cmp_eq_u32_e32 vcc, 0, v0
	s_and_b64 s[76:77], vcc, exec
	s_or_b64 s[74:75], s[74:75], s[76:77]
	s_mov_b64 s[78:79], -1
	s_or_b64 s[72:73], s[72:73], exec
	s_and_saveexec_b64 s[76:77], s[74:75]
	s_cbranch_execz .LBB4_962
.LBB4_966:                              ;   in Loop: Header=BB4_963 Depth=2
	s_sleep 1
	s_trap 2
	ds_read_b64 v[2:3], v0
	s_waitcnt lgkmcnt(0)
	s_andn2_b64 s[72:73], s[72:73], exec
	v_cmp_ge_u64_e32 vcc, v[2:3], v[38:39]
	s_orn2_b64 s[78:79], vcc, exec
	s_branch .LBB4_962
.LBB4_967:                              ;   in Loop: Header=BB4_523 Depth=1
	s_or_b64 exec, exec, s[60:61]
	s_and_saveexec_b64 s[60:61], s[62:63]
	s_xor_b64 s[60:61], exec, s[60:61]
	s_cbranch_execz .LBB4_969
; %bb.968:                              ;   in Loop: Header=BB4_523 Depth=1
	v_mov_b32_e32 v0, 1
	ds_write_b32 v0, v0
	s_trap 2
.LBB4_969:                              ;   in Loop: Header=BB4_523 Depth=1
	s_or_b64 exec, exec, s[58:59]
	;;#ASMSTART
	s_wakeup
	;;#ASMEND
.LBB4_970:                              ;   in Loop: Header=BB4_523 Depth=1
	s_or_b64 exec, exec, s[56:57]
.LBB4_971:                              ;   in Loop: Header=BB4_523 Depth=1
	s_andn2_saveexec_b64 s[46:47], s[46:47]
	s_cbranch_execz .LBB4_973
; %bb.972:                              ;   in Loop: Header=BB4_523 Depth=1
	s_waitcnt vmcnt(0) lgkmcnt(0)
	buffer_wbinvl1_vol
	s_barrier
.LBB4_973:                              ;   in Loop: Header=BB4_523 Depth=1
	s_or_b64 exec, exec, s[46:47]
.LBB4_974:                              ;   in Loop: Header=BB4_523 Depth=1
	s_or_b64 exec, exec, s[18:19]
	s_trap 2
	ds_read_b32 v0, v0
	v_sub_u32_e32 v1, v14, v1
	v_min_i32_e32 v1, v58, v1
	v_cmp_lt_i32_e32 vcc, 0, v1
	s_waitcnt lgkmcnt(0)
	v_readfirstlane_b32 s18, v0
	s_cmp_eq_u32 s18, 0
	s_cselect_b64 s[18:19], -1, 0
	v_and_b32_e32 v0, 16, v62
	s_and_b64 s[18:19], vcc, s[18:19]
	v_cmp_ne_u32_e32 vcc, 0, v0
	s_and_b64 s[46:47], vcc, s[18:19]
	s_and_saveexec_b64 s[18:19], s[46:47]
	s_cbranch_execz .LBB4_976
; %bb.975:                              ;   in Loop: Header=BB4_523 Depth=1
	s_waitcnt vmcnt(0)
	buffer_wbinvl1_vol
.LBB4_976:                              ;   in Loop: Header=BB4_523 Depth=1
	s_or_b64 exec, exec, s[18:19]
	v_and_b32_e32 v0, 32, v62
	v_cmp_ne_u32_e32 vcc, 0, v0
	s_and_saveexec_b64 s[18:19], vcc
	s_cbranch_execz .LBB4_521
; %bb.977:                              ;   in Loop: Header=BB4_523 Depth=1
	v_mov_b32_e32 v0, v6
	v_mov_b32_e32 v2, v8
	;; [unrolled: 1-line block ×3, first 2 shown]
	v_add_co_u32_e32 v2, vcc, 1, v2
	v_addc_co_u32_e32 v3, vcc, 0, v3, vcc
	v_mov_b32_e32 v1, v7
	v_mov_b32_e32 v9, v3
	;; [unrolled: 1-line block ×5, first 2 shown]
	flat_store_dwordx2 v[32:33], v[2:3]
	s_branch .LBB4_521
.LBB4_978:
	s_or_b64 exec, exec, s[42:43]
	buffer_load_dword v25, off, s[0:3], s33 offset:220 ; 4-byte Folded Reload
	buffer_load_dword v26, off, s[0:3], s33 offset:224 ; 4-byte Folded Reload
	v_mov_b32_e32 v4, v6
	v_mov_b32_e32 v5, v7
	;; [unrolled: 1-line block ×4, first 2 shown]
.LBB4_979:
	s_or_b64 exec, exec, s[28:29]
.LBB4_980:
	s_or_b64 exec, exec, s[22:23]
                                        ; implicit-def: $vgpr0_vgpr1
                                        ; kill: killed $vgpr0_vgpr1
                                        ; implicit-def: $vgpr28_vgpr29
                                        ; implicit-def: $vgpr36_vgpr37
                                        ; implicit-def: $vgpr32_vgpr33
                                        ; implicit-def: $vgpr27
                                        ; implicit-def: $vgpr30
                                        ; implicit-def: $vgpr0_vgpr1
                                        ; kill: killed $vgpr0_vgpr1
                                        ; implicit-def: $vgpr0
                                        ; kill: killed $vgpr0
                                        ; implicit-def: $vgpr0_vgpr1
                                        ; kill: killed $vgpr0_vgpr1
                                        ; implicit-def: $vgpr1
.LBB4_981:
	s_andn2_saveexec_b64 s[22:23], s[26:27]
	s_cbranch_execz .LBB4_1185
; %bb.982:
	v_mov_b32_e32 v38, 0
	v_cmp_ne_u64_e32 vcc, 0, v[28:29]
	v_mov_b32_e32 v39, 0
	s_and_saveexec_b64 s[26:27], vcc
	s_cbranch_execz .LBB4_1184
; %bb.983:
	s_waitcnt vmcnt(0)
	buffer_store_dword v25, off, s[0:3], s33 offset:220 ; 4-byte Folded Spill
	s_nop 0
	buffer_store_dword v26, off, s[0:3], s33 offset:224 ; 4-byte Folded Spill
	s_trap 2
	buffer_load_dword v0, off, s[0:3], s33 offset:196 ; 4-byte Folded Reload
	v_mov_b32_e32 v12, v30
	v_mov_b32_e32 v13, v31
	;; [unrolled: 1-line block ×4, first 2 shown]
	v_lshrrev_b32_e32 v28, 6, v24
	s_movk_i32 s18, 0x800
	s_lshr_b32 s6, s30, 27
	s_add_i32 s30, s30, s6
	v_cmp_ge_i32_e64 s[6:7], v27, v24
	v_lshlrev_b32_e32 v48, 7, v28
	v_add_u32_e32 v60, 0xffffff80, v48
	v_ashrrev_i32_e32 v61, 31, v60
	v_cmp_eq_u32_e32 vcc, 64, v24
	v_mov_b32_e32 v44, 0
	v_mov_b32_e32 v38, 0
	s_ashr_i32 s94, s30, 5
	v_cmp_ne_u32_e64 s[10:11], 64, v24
	v_mov_b32_e32 v53, 0
	s_mov_b64 s[40:41], 0
	v_mov_b32_e32 v45, 0
	v_mov_b32_e32 v39, 0
	s_xor_b64 s[42:43], vcc, -1
	s_waitcnt vmcnt(0)
	v_cmp_ne_u32_sdwa s[28:29], v24, v0 src0_sel:DWORD src1_sel:WORD_0
	buffer_load_dword v0, off, s[0:3], s33 offset:192 ; 4-byte Folded Reload
	s_waitcnt vmcnt(0)
	v_and_b32_e32 v0, 63, v0
	v_cmp_eq_u32_e64 s[12:13], 0, v0
	v_ashrrev_i32_e32 v0, 31, v27
	v_lshrrev_b32_e32 v0, 26, v0
	v_add_u32_e32 v0, v27, v0
	v_and_b32_e32 v2, 0xffffffc0, v0
	v_sub_u32_e32 v2, v27, v2
	v_ashrrev_i32_e32 v31, 6, v0
	v_lshlrev_b32_e32 v0, 4, v2
	v_lshl_add_u32 v0, v31, 11, v0
	buffer_store_dword v0, off, s[0:3], s33 offset:204 ; 4-byte Folded Spill
	v_ashrrev_i32_e32 v0, 31, v0
	buffer_store_dword v0, off, s[0:3], s33 offset:208 ; 4-byte Folded Spill
	v_mov_b32_e32 v0, 0xfffff800
	v_lshl_add_u32 v0, v28, 11, v0
	v_cmp_lt_i32_e64 s[16:17], v2, v1
	v_ashrrev_i32_e32 v1, 31, v0
	buffer_store_dword v2, off, s[0:3], s33 offset:200 ; 4-byte Folded Spill
	v_add_co_u32_e64 v51, s[18:19], s18, v0
	buffer_store_dword v0, off, s[0:3], s33 offset:152 ; 4-byte Folded Spill
	s_nop 0
	buffer_store_dword v1, off, s[0:3], s33 offset:156 ; 4-byte Folded Spill
	v_cmp_gt_i32_e64 s[14:15], 1, v2
	v_lshlrev_b32_e32 v0, 10, v28
	v_add_u32_e32 v27, 0xfffffc00, v0
	v_ashrrev_i32_e32 v29, 31, v27
	v_addc_co_u32_e64 v26, s[18:19], 0, v1, s[18:19]
	v_mov_b32_e32 v1, 0xfffffe00
	v_lshl_add_u32 v40, v28, 9, v1
	buffer_load_dword v1, off, s[0:3], s33 offset:172 ; 4-byte Folded Reload
	buffer_load_dword v2, off, s[0:3], s33 offset:176 ; 4-byte Folded Reload
	s_movk_i32 s18, 0x400
	v_add_co_u32_e64 v0, s[18:19], s18, v27
	v_addc_co_u32_e64 v42, s[18:19], 0, v29, s[18:19]
	s_movk_i32 s18, 0x200
	v_ashrrev_i32_e32 v41, 31, v40
	v_add_co_u32_e64 v34, s[18:19], s18, v40
	v_addc_co_u32_e64 v35, s[18:19], 0, v41, s[18:19]
	s_movk_i32 s18, 0x80
	v_add_co_u32_e64 v16, s[18:19], s18, v60
	v_addc_co_u32_e64 v17, s[18:19], 0, v61, s[18:19]
	buffer_store_dword v10, off, s[0:3], s33 offset:136 ; 4-byte Folded Spill
	s_nop 0
	buffer_store_dword v11, off, s[0:3], s33 offset:140 ; 4-byte Folded Spill
	buffer_store_dword v12, off, s[0:3], s33 offset:144 ; 4-byte Folded Spill
	;; [unrolled: 1-line block ×4, first 2 shown]
	s_nop 0
	buffer_store_dword v61, off, s[0:3], s33 offset:216 ; 4-byte Folded Spill
	buffer_store_dword v16, off, s[0:3], s33 offset:180 ; 4-byte Folded Spill
	;; [unrolled: 1-line block ×3, first 2 shown]
	s_waitcnt vmcnt(0)
	v_cmp_ne_u64_e64 s[18:19], 0, v[1:2]
	s_branch .LBB4_987
.LBB4_984:                              ;   in Loop: Header=BB4_987 Depth=1
	s_or_b64 exec, exec, s[44:45]
	v_mov_b32_e32 v9, v7
	v_mov_b32_e32 v8, v6
	;; [unrolled: 1-line block ×4, first 2 shown]
	v_add_co_u32_e32 v8, vcc, 1, v8
	v_addc_co_u32_e32 v9, vcc, 0, v9, vcc
	v_mov_b32_e32 v4, v6
	v_mov_b32_e32 v5, v7
	;; [unrolled: 1-line block ×4, first 2 shown]
	flat_store_dwordx2 v[32:33], v[8:9]
.LBB4_985:                              ;   in Loop: Header=BB4_987 Depth=1
	s_or_b64 exec, exec, s[20:21]
.LBB4_986:                              ;   in Loop: Header=BB4_987 Depth=1
	s_or_b64 exec, exec, s[46:47]
	buffer_load_dword v8, off, s[0:3], s33 offset:136 ; 4-byte Folded Reload
	buffer_load_dword v9, off, s[0:3], s33 offset:140 ; 4-byte Folded Reload
	;; [unrolled: 1-line block ×4, first 2 shown]
	v_mov_b32_e32 v12, v49
	v_add_co_u32_e32 v44, vcc, v44, v12
	v_addc_co_u32_e32 v45, vcc, 0, v45, vcc
	v_mov_b32_e32 v13, v50
	s_waitcnt vmcnt(0)
	v_mov_b32_e32 v11, v9
	v_mov_b32_e32 v10, v8
	v_cmp_ge_u64_e32 vcc, v[44:45], v[10:11]
	s_or_b64 s[40:41], vcc, s[40:41]
	s_andn2_b64 exec, exec, s[40:41]
	s_cbranch_execz .LBB4_1183
.LBB4_987:                              ; =>This Loop Header: Depth=1
                                        ;     Child Loop BB4_996 Depth 2
                                        ;     Child Loop BB4_1020 Depth 2
	;; [unrolled: 1-line block ×10, first 2 shown]
	v_sub_co_u32_e32 v1, vcc, v10, v44
	v_subb_co_u32_e32 v2, vcc, v11, v45, vcc
	v_cmp_lt_u64_e32 vcc, v[12:13], v[1:2]
	v_mov_b32_e32 v50, v13
	v_cndmask_b32_e64 v47, v2, 0, vcc
	v_cndmask_b32_e32 v46, v1, v12, vcc
	v_cmp_eq_u64_e32 vcc, 0, v[46:47]
	v_add_u32_e32 v1, 15, v46
	v_and_b32_e32 v1, 0x3ffffff0, v1
	s_or_b64 s[44:45], s[6:7], vcc
	v_mov_b32_e32 v49, v12
	v_max_i32_e32 v47, s94, v1
	s_xor_b64 s[20:21], s[44:45], -1
	v_mov_b32_e32 v1, 0
	s_and_saveexec_b64 s[46:47], s[20:21]
	s_cbranch_execz .LBB4_1136
; %bb.988:                              ;   in Loop: Header=BB4_987 Depth=1
	s_and_saveexec_b64 s[20:21], s[4:5]
	s_cbranch_execz .LBB4_990
; %bb.989:                              ;   in Loop: Header=BB4_987 Depth=1
	s_trap 2
	ds_read_b64 v[1:2], v0
	buffer_load_dword v10, off, s[0:3], s33 offset:160 ; 4-byte Folded Reload
	buffer_load_dword v11, off, s[0:3], s33 offset:164 ; 4-byte Folded Reload
	v_mov_b32_e32 v52, v53
	ds_write_b64 v0, v[52:53]
	s_waitcnt vmcnt(0)
	v_lshlrev_b64 v[10:11], 1, v[10:11]
	s_waitcnt lgkmcnt(0)
	v_add_co_u32_e32 v3, vcc, v1, v10
	v_addc_co_u32_e32 v10, vcc, v2, v11, vcc
	v_lshlrev_b64 v[1:2], 1, v[44:45]
	v_add_co_u32_e32 v1, vcc, v3, v1
	v_addc_co_u32_e32 v2, vcc, v10, v2, vcc
	ds_write_b64 v0, v[1:2]
.LBB4_990:                              ;   in Loop: Header=BB4_987 Depth=1
	s_or_b64 exec, exec, s[20:21]
	v_and_b32_e32 v1, 8, v62
	v_min_u32_e32 v47, v47, v46
	v_cmp_ne_u32_e32 vcc, 0, v1
	s_and_saveexec_b64 s[56:57], vcc
	s_cbranch_execz .LBB4_1012
; %bb.991:                              ;   in Loop: Header=BB4_987 Depth=1
	v_add_co_u32_e32 v1, vcc, 8, v36
	s_waitcnt lgkmcnt(0)
	v_mov_b32_e32 v11, v7
	v_addc_co_u32_e32 v2, vcc, 0, v37, vcc
	v_mov_b32_e32 v10, v6
	v_add_co_u32_e32 v10, vcc, 1, v10
	v_addc_co_u32_e32 v11, vcc, 0, v11, vcc
	v_cmp_lt_u64_e32 vcc, v[1:2], v[10:11]
	v_mov_b32_e32 v9, v5
	v_mov_b32_e32 v8, v4
	s_and_saveexec_b64 s[58:59], vcc
	s_cbranch_execz .LBB4_1003
; %bb.992:                              ;   in Loop: Header=BB4_987 Depth=1
	v_and_b32_e32 v1, 64, v62
	s_mov_b32 s95, 0
	v_cmp_eq_u32_e32 vcc, 0, v1
	s_mov_b64 s[60:61], 0
                                        ; implicit-def: $sgpr62_sgpr63
                                        ; implicit-def: $sgpr72_sgpr73
                                        ; implicit-def: $sgpr74_sgpr75
	s_branch .LBB4_996
.LBB4_993:                              ;   in Loop: Header=BB4_996 Depth=2
	s_waitcnt vmcnt(0) lgkmcnt(0)
	v_add_co_u32_e64 v12, s[20:21], 8, v36
	v_addc_co_u32_e64 v13, s[20:21], 0, v37, s[20:21]
	v_cmp_ge_u64_e64 s[20:21], v[12:13], v[10:11]
	s_or_b64 s[88:89], s[88:89], exec
	s_orn2_b64 s[78:79], s[20:21], exec
.LBB4_994:                              ;   in Loop: Header=BB4_996 Depth=2
	s_or_b64 exec, exec, s[92:93]
	s_andn2_b64 s[20:21], s[74:75], exec
	s_and_b64 s[74:75], s[88:89], exec
	s_or_b64 s[74:75], s[20:21], s[74:75]
	s_andn2_b64 s[20:21], s[72:73], exec
	s_and_b64 s[72:73], s[78:79], exec
	s_or_b64 s[72:73], s[20:21], s[72:73]
.LBB4_995:                              ;   in Loop: Header=BB4_996 Depth=2
	s_or_b64 exec, exec, s[76:77]
	s_and_b64 s[20:21], exec, s[72:73]
	s_or_b64 s[60:61], s[20:21], s[60:61]
	s_andn2_b64 s[20:21], s[62:63], exec
	s_and_b64 s[62:63], s[74:75], exec
	s_or_b64 s[62:63], s[20:21], s[62:63]
	s_andn2_b64 exec, exec, s[60:61]
	s_cbranch_execz .LBB4_1000
.LBB4_996:                              ;   Parent Loop BB4_987 Depth=1
                                        ; =>  This Inner Loop Header: Depth=2
	s_sleep 1
	s_waitcnt vmcnt(0) lgkmcnt(0)
	flat_load_dwordx2 v[36:37], v[32:33] glc
	s_or_b64 s[74:75], s[74:75], exec
	s_or_b64 s[72:73], s[72:73], exec
                                        ; implicit-def: $vgpr2
	s_and_saveexec_b64 s[76:77], vcc
	s_cbranch_execz .LBB4_995
; %bb.997:                              ;   in Loop: Header=BB4_996 Depth=2
	s_cmpk_lt_i32 s95, 0x270f
	s_cselect_b64 s[90:91], -1, 0
	s_cmpk_gt_i32 s95, 0x270e
	s_mov_b64 s[78:79], -1
	s_cbranch_scc0 .LBB4_999
; %bb.998:                              ;   in Loop: Header=BB4_996 Depth=2
	s_trap 2
	ds_read_b64 v[1:2], v0
	s_andn2_b64 s[90:91], s[90:91], exec
	s_mov_b32 s95, 0
	s_mov_b64 s[88:89], 0
	s_waitcnt vmcnt(0) lgkmcnt(0)
	flat_load_dword v2, v[1:2] glc
	s_waitcnt vmcnt(0) lgkmcnt(0)
	buffer_wbinvl1_vol
	v_cmp_eq_u32_e64 s[20:21], 0, v2
	s_and_b64 s[20:21], s[20:21], exec
	s_or_b64 s[90:91], s[90:91], s[20:21]
	s_and_saveexec_b64 s[92:93], s[90:91]
	s_cbranch_execz .LBB4_994
	s_branch .LBB4_993
.LBB4_999:                              ;   in Loop: Header=BB4_996 Depth=2
	s_add_i32 s95, s95, 1
	s_mov_b64 s[88:89], -1
                                        ; implicit-def: $vgpr2
	s_and_saveexec_b64 s[92:93], s[90:91]
	s_cbranch_execz .LBB4_994
	s_branch .LBB4_993
.LBB4_1000:                             ;   in Loop: Header=BB4_987 Depth=1
	s_or_b64 exec, exec, s[60:61]
	s_xor_b64 s[20:21], s[62:63], -1
	s_and_saveexec_b64 s[60:61], s[20:21]
	s_xor_b64 s[20:21], exec, s[60:61]
	s_cbranch_execz .LBB4_1002
; %bb.1001:                             ;   in Loop: Header=BB4_987 Depth=1
	v_or_b32_e32 v62, 64, v62
	s_waitcnt lgkmcnt(0)
	ds_write_b32 v0, v2
	s_trap 2
.LBB4_1002:                             ;   in Loop: Header=BB4_987 Depth=1
	s_or_b64 exec, exec, s[20:21]
.LBB4_1003:                             ;   in Loop: Header=BB4_987 Depth=1
	s_or_b64 exec, exec, s[58:59]
	v_and_b32_e32 v1, 0x100, v62
	v_cmp_ne_u32_e32 vcc, 0, v1
	v_and_b32_e32 v1, 7, v6
	s_mov_b64 s[20:21], -1
	;;#ASMSTART
	s_wakeup
	;;#ASMEND
                                        ; implicit-def: $vgpr2_vgpr3
	s_and_saveexec_b64 s[58:59], vcc
	s_cbranch_execz .LBB4_1007
; %bb.1004:                             ;   in Loop: Header=BB4_987 Depth=1
	v_mad_u64_u32 v[8:9], s[20:21], v1, 24, v[4:5]
	v_lshlrev_b32_e32 v52, 1, v47
	flat_load_dword v2, v[8:9]
	s_nop 0
	flat_store_dwordx2 v[8:9], v[52:53] offset:8
	s_waitcnt vmcnt(0) lgkmcnt(0)
	v_cmp_ne_u32_e32 vcc, 1, v2
	v_cmp_eq_u32_e64 s[20:21], 1, v2
                                        ; implicit-def: $vgpr2_vgpr3
	s_and_saveexec_b64 s[60:61], s[20:21]
	s_cbranch_execz .LBB4_1006
; %bb.1005:                             ;   in Loop: Header=BB4_987 Depth=1
	flat_load_dword v2, v[8:9] offset:4 glc
	s_waitcnt vmcnt(0) lgkmcnt(0)
	v_ashrrev_i32_e32 v3, 31, v2
	v_lshrrev_b64 v[2:3], 1, v[2:3]
.LBB4_1006:                             ;   in Loop: Header=BB4_987 Depth=1
	s_or_b64 exec, exec, s[60:61]
	s_orn2_b64 s[20:21], vcc, exec
.LBB4_1007:                             ;   in Loop: Header=BB4_987 Depth=1
	s_or_b64 exec, exec, s[58:59]
	s_and_saveexec_b64 s[58:59], s[20:21]
	s_cbranch_execz .LBB4_1009
; %bb.1008:                             ;   in Loop: Header=BB4_987 Depth=1
	buffer_load_dword v2, off, s[0:3], s33 offset:168 ; 4-byte Folded Reload
	s_waitcnt vmcnt(0)
	v_mad_i64_i32 v[2:3], s[20:21], v1, v2, 0
.LBB4_1009:                             ;   in Loop: Header=BB4_987 Depth=1
	s_or_b64 exec, exec, s[58:59]
	buffer_load_dword v8, off, s[0:3], s33 offset:128 ; 4-byte Folded Reload
	buffer_load_dword v9, off, s[0:3], s33 offset:132 ; 4-byte Folded Reload
	v_lshlrev_b64 v[1:2], 1, v[2:3]
	s_waitcnt vmcnt(0)
	v_add_co_u32_e32 v1, vcc, v8, v1
	v_addc_co_u32_e32 v2, vcc, v9, v2, vcc
	ds_write_b64 v0, v[1:2] offset:784
	v_and_b32_e32 v1, 0x2000, v62
	v_cmp_ne_u32_e32 vcc, 0, v1
	s_and_saveexec_b64 s[20:21], vcc
	s_cbranch_execz .LBB4_1011
; %bb.1010:                             ;   in Loop: Header=BB4_987 Depth=1
	ds_read_b64 v[1:2], v0 offset:872
	s_waitcnt lgkmcnt(0)
	v_add_co_u32_e32 v1, vcc, 1, v1
	v_addc_co_u32_e32 v2, vcc, 0, v2, vcc
	ds_write_b64 v0, v[1:2] offset:872
.LBB4_1011:                             ;   in Loop: Header=BB4_987 Depth=1
	s_or_b64 exec, exec, s[20:21]
	v_mov_b32_e32 v6, v10
	v_mov_b32_e32 v7, v11
.LBB4_1012:                             ;   in Loop: Header=BB4_987 Depth=1
	s_or_b64 exec, exec, s[56:57]
	s_and_saveexec_b64 s[20:21], s[10:11]
	s_cbranch_execz .LBB4_1031
; %bb.1013:                             ;   in Loop: Header=BB4_987 Depth=1
	s_and_saveexec_b64 s[56:57], s[28:29]
	s_xor_b64 s[56:57], exec, s[56:57]
	s_cbranch_execz .LBB4_1028
; %bb.1014:                             ;   in Loop: Header=BB4_987 Depth=1
	s_and_saveexec_b64 s[58:59], s[12:13]
	s_cbranch_execz .LBB4_1027
; %bb.1015:                             ;   in Loop: Header=BB4_987 Depth=1
	s_mov_b64 s[62:63], exec
	v_mbcnt_lo_u32_b32 v1, s62, 0
	v_mbcnt_hi_u32_b32 v1, s63, v1
	v_cmp_eq_u32_e32 vcc, 0, v1
	s_waitcnt lgkmcnt(0)
	buffer_wbinvl1_vol
	s_and_saveexec_b64 s[60:61], vcc
	s_cbranch_execz .LBB4_1017
; %bb.1016:                             ;   in Loop: Header=BB4_987 Depth=1
	s_bcnt1_i32_b64 s62, s[62:63]
	v_mov_b32_e32 v52, s62
	ds_add_u64 v0, v[52:53]
	s_trap 2
.LBB4_1017:                             ;   in Loop: Header=BB4_987 Depth=1
	s_or_b64 exec, exec, s[60:61]
	s_trap 2
	ds_read_b64 v[1:2], v0
	s_waitcnt lgkmcnt(0)
	v_mov_b32_e32 v10, v38
	v_mov_b32_e32 v11, v39
	v_add_co_u32_e32 v10, vcc, v10, v28
	v_addc_co_u32_e32 v11, vcc, 0, v11, vcc
	v_mov_b32_e32 v39, v11
	v_cmp_lt_u64_e32 vcc, v[1:2], v[10:11]
	v_mov_b32_e32 v38, v10
	s_and_saveexec_b64 s[60:61], vcc
	s_cbranch_execz .LBB4_1026
; %bb.1018:                             ;   in Loop: Header=BB4_987 Depth=1
	s_mov_b32 s90, 0
	s_mov_b64 s[62:63], 0
                                        ; implicit-def: $sgpr72_sgpr73
                                        ; implicit-def: $sgpr74_sgpr75
	s_branch .LBB4_1020
.LBB4_1019:                             ;   in Loop: Header=BB4_1020 Depth=2
	s_or_b64 exec, exec, s[78:79]
	s_and_b64 s[76:77], exec, s[88:89]
	s_or_b64 s[62:63], s[76:77], s[62:63]
	s_andn2_b64 s[72:73], s[72:73], exec
	s_and_b64 s[76:77], s[74:75], exec
	s_or_b64 s[72:73], s[72:73], s[76:77]
	s_andn2_b64 exec, exec, s[62:63]
	s_cbranch_execz .LBB4_1024
.LBB4_1020:                             ;   Parent Loop BB4_987 Depth=1
                                        ; =>  This Inner Loop Header: Depth=2
	s_add_i32 s90, s90, 1
	s_cmpk_lg_i32 s90, 0x2710
	s_cselect_b64 s[76:77], -1, 0
	s_and_b64 vcc, exec, s[76:77]
	s_cbranch_vccz .LBB4_1022
; %bb.1021:                             ;   in Loop: Header=BB4_1020 Depth=2
	s_mov_b64 s[88:89], -1
	s_or_b64 s[74:75], s[74:75], exec
	s_and_saveexec_b64 s[78:79], s[76:77]
	s_cbranch_execz .LBB4_1019
	s_branch .LBB4_1023
.LBB4_1022:                             ;   in Loop: Header=BB4_1020 Depth=2
	s_trap 2
	ds_read_b64 v[1:2], v0
	s_andn2_b64 s[76:77], s[76:77], exec
	s_mov_b32 s90, 0
	s_waitcnt lgkmcnt(0)
	flat_load_dword v1, v[1:2] glc
	s_waitcnt vmcnt(0) lgkmcnt(0)
	buffer_wbinvl1_vol
	v_cmp_eq_u32_e32 vcc, 0, v1
	s_and_b64 s[78:79], vcc, exec
	s_or_b64 s[76:77], s[76:77], s[78:79]
	s_mov_b64 s[88:89], -1
	s_or_b64 s[74:75], s[74:75], exec
	s_and_saveexec_b64 s[78:79], s[76:77]
	s_cbranch_execz .LBB4_1019
.LBB4_1023:                             ;   in Loop: Header=BB4_1020 Depth=2
	s_sleep 1
	s_trap 2
	ds_read_b64 v[1:2], v0
	s_waitcnt lgkmcnt(0)
	s_andn2_b64 s[74:75], s[74:75], exec
	v_cmp_ge_u64_e32 vcc, v[1:2], v[38:39]
	s_orn2_b64 s[88:89], vcc, exec
	s_branch .LBB4_1019
.LBB4_1024:                             ;   in Loop: Header=BB4_987 Depth=1
	s_or_b64 exec, exec, s[62:63]
	s_and_saveexec_b64 s[62:63], s[72:73]
	s_xor_b64 s[62:63], exec, s[62:63]
	s_cbranch_execz .LBB4_1026
; %bb.1025:                             ;   in Loop: Header=BB4_987 Depth=1
	v_mov_b32_e32 v1, 1
	ds_write_b32 v0, v1
	s_trap 2
.LBB4_1026:                             ;   in Loop: Header=BB4_987 Depth=1
	s_or_b64 exec, exec, s[60:61]
	;;#ASMSTART
	s_wakeup
	;;#ASMEND
.LBB4_1027:                             ;   in Loop: Header=BB4_987 Depth=1
	s_or_b64 exec, exec, s[58:59]
.LBB4_1028:                             ;   in Loop: Header=BB4_987 Depth=1
	s_andn2_saveexec_b64 s[56:57], s[56:57]
	s_cbranch_execz .LBB4_1030
; %bb.1029:                             ;   in Loop: Header=BB4_987 Depth=1
	s_waitcnt lgkmcnt(0)
	buffer_wbinvl1_vol
	s_barrier
.LBB4_1030:                             ;   in Loop: Header=BB4_987 Depth=1
	s_or_b64 exec, exec, s[56:57]
.LBB4_1031:                             ;   in Loop: Header=BB4_987 Depth=1
	s_or_b64 exec, exec, s[20:21]
	s_trap 2
	ds_read_b32 v2, v0
	v_and_b32_e32 v1, 0x4000, v62
	v_cmp_ne_u32_e32 vcc, 0, v1
	s_and_b64 s[56:57], s[42:43], vcc
	s_and_saveexec_b64 s[20:21], s[56:57]
	s_cbranch_execz .LBB4_1050
; %bb.1032:                             ;   in Loop: Header=BB4_987 Depth=1
	s_and_saveexec_b64 s[56:57], s[28:29]
	s_xor_b64 s[56:57], exec, s[56:57]
	s_cbranch_execz .LBB4_1047
; %bb.1033:                             ;   in Loop: Header=BB4_987 Depth=1
	s_and_saveexec_b64 s[58:59], s[12:13]
	s_cbranch_execz .LBB4_1046
; %bb.1034:                             ;   in Loop: Header=BB4_987 Depth=1
	s_mov_b64 s[62:63], exec
	v_mbcnt_lo_u32_b32 v1, s62, 0
	v_mbcnt_hi_u32_b32 v1, s63, v1
	v_cmp_eq_u32_e32 vcc, 0, v1
	s_waitcnt lgkmcnt(0)
	buffer_wbinvl1_vol
	s_and_saveexec_b64 s[60:61], vcc
	s_cbranch_execz .LBB4_1036
; %bb.1035:                             ;   in Loop: Header=BB4_987 Depth=1
	s_bcnt1_i32_b64 s62, s[62:63]
	v_mov_b32_e32 v52, s62
	ds_add_u64 v0, v[52:53]
	s_trap 2
.LBB4_1036:                             ;   in Loop: Header=BB4_987 Depth=1
	s_or_b64 exec, exec, s[60:61]
	s_trap 2
	ds_read_b64 v[10:11], v0
	s_waitcnt lgkmcnt(0)
	v_mov_b32_e32 v12, v38
	v_mov_b32_e32 v13, v39
	v_add_co_u32_e32 v12, vcc, v12, v28
	v_addc_co_u32_e32 v13, vcc, 0, v13, vcc
	v_mov_b32_e32 v39, v13
	v_cmp_lt_u64_e32 vcc, v[10:11], v[12:13]
	v_mov_b32_e32 v38, v12
	s_and_saveexec_b64 s[60:61], vcc
	s_cbranch_execz .LBB4_1045
; %bb.1037:                             ;   in Loop: Header=BB4_987 Depth=1
	s_mov_b32 s90, 0
	s_mov_b64 s[62:63], 0
                                        ; implicit-def: $sgpr72_sgpr73
                                        ; implicit-def: $sgpr74_sgpr75
	s_branch .LBB4_1039
.LBB4_1038:                             ;   in Loop: Header=BB4_1039 Depth=2
	s_or_b64 exec, exec, s[78:79]
	s_and_b64 s[76:77], exec, s[88:89]
	s_or_b64 s[62:63], s[76:77], s[62:63]
	s_andn2_b64 s[72:73], s[72:73], exec
	s_and_b64 s[76:77], s[74:75], exec
	s_or_b64 s[72:73], s[72:73], s[76:77]
	s_andn2_b64 exec, exec, s[62:63]
	s_cbranch_execz .LBB4_1043
.LBB4_1039:                             ;   Parent Loop BB4_987 Depth=1
                                        ; =>  This Inner Loop Header: Depth=2
	s_add_i32 s90, s90, 1
	s_cmpk_lg_i32 s90, 0x2710
	s_cselect_b64 s[76:77], -1, 0
	s_and_b64 vcc, exec, s[76:77]
	s_cbranch_vccz .LBB4_1041
; %bb.1040:                             ;   in Loop: Header=BB4_1039 Depth=2
	s_mov_b64 s[88:89], -1
	s_or_b64 s[74:75], s[74:75], exec
	s_and_saveexec_b64 s[78:79], s[76:77]
	s_cbranch_execz .LBB4_1038
	s_branch .LBB4_1042
.LBB4_1041:                             ;   in Loop: Header=BB4_1039 Depth=2
	s_trap 2
	ds_read_b64 v[10:11], v0
	s_andn2_b64 s[76:77], s[76:77], exec
	s_mov_b32 s90, 0
	s_waitcnt lgkmcnt(0)
	flat_load_dword v1, v[10:11] glc
	s_waitcnt vmcnt(0) lgkmcnt(0)
	buffer_wbinvl1_vol
	v_cmp_eq_u32_e32 vcc, 0, v1
	s_and_b64 s[78:79], vcc, exec
	s_or_b64 s[76:77], s[76:77], s[78:79]
	s_mov_b64 s[88:89], -1
	s_or_b64 s[74:75], s[74:75], exec
	s_and_saveexec_b64 s[78:79], s[76:77]
	s_cbranch_execz .LBB4_1038
.LBB4_1042:                             ;   in Loop: Header=BB4_1039 Depth=2
	s_sleep 1
	s_trap 2
	ds_read_b64 v[10:11], v0
	s_waitcnt lgkmcnt(0)
	s_andn2_b64 s[74:75], s[74:75], exec
	v_cmp_ge_u64_e32 vcc, v[10:11], v[38:39]
	s_orn2_b64 s[88:89], vcc, exec
	s_branch .LBB4_1038
.LBB4_1043:                             ;   in Loop: Header=BB4_987 Depth=1
	s_or_b64 exec, exec, s[62:63]
	s_and_saveexec_b64 s[62:63], s[72:73]
	s_xor_b64 s[62:63], exec, s[62:63]
	s_cbranch_execz .LBB4_1045
; %bb.1044:                             ;   in Loop: Header=BB4_987 Depth=1
	v_mov_b32_e32 v1, 1
	ds_write_b32 v0, v1
	s_trap 2
.LBB4_1045:                             ;   in Loop: Header=BB4_987 Depth=1
	s_or_b64 exec, exec, s[60:61]
	;;#ASMSTART
	s_wakeup
	;;#ASMEND
.LBB4_1046:                             ;   in Loop: Header=BB4_987 Depth=1
	s_or_b64 exec, exec, s[58:59]
.LBB4_1047:                             ;   in Loop: Header=BB4_987 Depth=1
	s_andn2_saveexec_b64 s[56:57], s[56:57]
	s_cbranch_execz .LBB4_1049
; %bb.1048:                             ;   in Loop: Header=BB4_987 Depth=1
	s_waitcnt lgkmcnt(0)
	buffer_wbinvl1_vol
	s_barrier
.LBB4_1049:                             ;   in Loop: Header=BB4_987 Depth=1
	s_or_b64 exec, exec, s[56:57]
.LBB4_1050:                             ;   in Loop: Header=BB4_987 Depth=1
	s_or_b64 exec, exec, s[20:21]
	s_trap 2
	ds_read_b64 v[56:57], v0
	s_waitcnt lgkmcnt(0)
	v_cmp_eq_u64_e32 vcc, 0, v[56:57]
	s_cbranch_vccnz .LBB4_1058
; %bb.1051:                             ;   in Loop: Header=BB4_987 Depth=1
	s_trap 2
	ds_read_b64 v[58:59], v0
	s_waitcnt lgkmcnt(0)
	v_cmp_eq_u64_e32 vcc, 0, v[58:59]
	s_cbranch_vccnz .LBB4_1059
; %bb.1052:                             ;   in Loop: Header=BB4_987 Depth=1
	s_mov_b64 s[56:57], -1
	s_and_saveexec_b64 s[20:21], s[14:15]
	s_cbranch_execz .LBB4_1054
; %bb.1053:                             ;   in Loop: Header=BB4_987 Depth=1
	ds_read_b32 v1, v0 offset:720
	s_waitcnt lgkmcnt(0)
	v_and_b32_e32 v1, 15, v1
	v_cmp_eq_u32_e32 vcc, 0, v1
	s_orn2_b64 s[56:57], vcc, exec
.LBB4_1054:                             ;   in Loop: Header=BB4_987 Depth=1
	s_or_b64 exec, exec, s[20:21]
	s_and_saveexec_b64 s[20:21], s[16:17]
	s_cbranch_execz .LBB4_1056
; %bb.1055:                             ;   in Loop: Header=BB4_987 Depth=1
	ds_read_b32 v1, v0 offset:784
	s_waitcnt lgkmcnt(0)
	v_and_b32_e32 v1, 15, v1
	v_cmp_eq_u32_e32 vcc, 0, v1
	s_and_b64 s[58:59], s[56:57], vcc
	s_andn2_b64 s[56:57], s[56:57], exec
	s_and_b64 s[58:59], s[58:59], exec
	s_or_b64 s[56:57], s[56:57], s[58:59]
.LBB4_1056:                             ;   in Loop: Header=BB4_987 Depth=1
	s_or_b64 exec, exec, s[20:21]
	s_xor_b64 s[56:57], s[56:57], -1
	v_cndmask_b32_e64 v1, 0, 1, s[56:57]
	v_cmp_eq_u32_e64 s[20:21], 0, v2
	s_mov_b64 s[58:59], -1
	v_cmp_ne_u32_e32 vcc, 0, v1
	s_cbranch_vccz .LBB4_1060
; %bb.1057:                             ;   in Loop: Header=BB4_987 Depth=1
	s_mov_b64 s[58:59], 0
	s_mov_b64 s[56:57], -1
	s_branch .LBB4_1061
.LBB4_1058:                             ;   in Loop: Header=BB4_987 Depth=1
	s_mov_b64 s[20:21], 0
	s_and_saveexec_b64 s[56:57], s[10:11]
	s_cbranch_execnz .LBB4_1111
	s_branch .LBB4_1129
.LBB4_1059:                             ;   in Loop: Header=BB4_987 Depth=1
	s_mov_b64 s[20:21], 0
	buffer_load_dword v16, off, s[0:3], s33 offset:180 ; 4-byte Folded Reload
	buffer_load_dword v17, off, s[0:3], s33 offset:184 ; 4-byte Folded Reload
	s_and_saveexec_b64 s[56:57], s[10:11]
	s_cbranch_execz .LBB4_1129
	s_branch .LBB4_1111
.LBB4_1060:                             ;   in Loop: Header=BB4_987 Depth=1
	s_mov_b64 s[56:57], 0
.LBB4_1061:                             ;   in Loop: Header=BB4_987 Depth=1
	v_cndmask_b32_e64 v52, 0, v47, s[20:21]
	v_lshlrev_b32_e32 v43, 1, v52
	s_andn2_b64 vcc, exec, s[58:59]
	v_mov_b32_e32 v14, 0
	s_cbranch_vccnz .LBB4_1069
; %bb.1062:                             ;   in Loop: Header=BB4_987 Depth=1
	buffer_load_dword v1, off, s[0:3], s33 offset:204 ; 4-byte Folded Reload
	v_lshrrev_b32_e32 v2, 10, v52
	v_mov_b32_e32 v8, v40
	v_sub_u32_e32 v54, v2, v31
	v_mov_b32_e32 v9, v41
	v_mov_b32_e32 v30, v0
	;; [unrolled: 1-line block ×4, first 2 shown]
	s_mov_b64 s[58:59], 0
                                        ; implicit-def: $vgpr10_vgpr11
                                        ; implicit-def: $vgpr14_vgpr15
	s_waitcnt vmcnt(0)
	v_add_co_u32_e32 v60, vcc, v58, v1
	buffer_load_dword v1, off, s[0:3], s33 offset:208 ; 4-byte Folded Reload
	s_waitcnt vmcnt(0)
	v_addc_co_u32_e32 v61, vcc, v59, v1, vcc
	v_cmp_lt_i32_e32 vcc, 0, v54
	s_and_saveexec_b64 s[20:21], vcc
	s_cbranch_execz .LBB4_1071
; %bb.1063:                             ;   in Loop: Header=BB4_987 Depth=1
	buffer_load_dword v1, off, s[0:3], s33 offset:204 ; 4-byte Folded Reload
	s_mov_b64 s[62:63], 0
                                        ; implicit-def: $sgpr60_sgpr61
                                        ; implicit-def: $vgpr10_vgpr11
                                        ; implicit-def: $vgpr14_vgpr15
	s_waitcnt vmcnt(0)
	v_add_co_u32_e32 v2, vcc, v56, v1
	buffer_load_dword v1, off, s[0:3], s33 offset:208 ; 4-byte Folded Reload
	s_waitcnt vmcnt(0)
	v_addc_co_u32_e32 v3, vcc, v57, v1, vcc
	s_branch .LBB4_1065
.LBB4_1064:                             ;   in Loop: Header=BB4_1065 Depth=2
	s_or_b64 exec, exec, s[72:73]
	s_waitcnt vmcnt(1)
	global_store_dwordx4 v[60:61], v[18:21], off glc slc
	s_waitcnt vmcnt(1)
	global_store_dwordx4 v[60:61], v[22:25], off offset:1024 glc slc
	v_add_co_u32_e32 v18, vcc, v60, v54
	v_addc_co_u32_e32 v19, vcc, v61, v55, vcc
	v_add_co_u32_e32 v60, vcc, 0x800, v18
	v_addc_co_u32_e32 v61, vcc, 0, v19, vcc
	;; [unrolled: 2-line block ×3, first 2 shown]
	v_sub_u32_e32 v54, v1, v31
	v_cmp_gt_i32_e32 vcc, 1, v54
	s_or_b64 s[58:59], vcc, s[58:59]
	s_andn2_b64 s[60:61], s[60:61], exec
	s_and_b64 s[72:73], s[62:63], exec
	s_or_b64 s[60:61], s[60:61], s[72:73]
	s_andn2_b64 exec, exec, s[58:59]
	s_cbranch_execz .LBB4_1070
.LBB4_1065:                             ;   Parent Loop BB4_987 Depth=1
                                        ; =>  This Inner Loop Header: Depth=2
	global_load_dwordx4 v[18:21], v[2:3], off glc slc
	global_load_dwordx4 v[22:25], v[2:3], off offset:1024 glc slc
	s_and_saveexec_b64 s[72:73], s[62:63]
	s_cbranch_execz .LBB4_1067
; %bb.1066:                             ;   in Loop: Header=BB4_1065 Depth=2
	v_add_co_u32_e32 v40, vcc, v60, v51
	v_addc_co_u32_e32 v41, vcc, v61, v26, vcc
	global_store_dwordx4 v[60:61], v[10:13], off glc slc
	global_store_dwordx4 v[60:61], v[14:17], off offset:1024 glc slc
	v_mov_b32_e32 v61, v41
	v_mov_b32_e32 v60, v40
.LBB4_1067:                             ;   in Loop: Header=BB4_1065 Depth=2
	s_or_b64 exec, exec, s[72:73]
	v_add_co_u32_e32 v2, vcc, v2, v51
	v_sub_u32_e32 v1, v54, v28
	v_mov_b32_e32 v54, 0
	v_addc_co_u32_e32 v3, vcc, v3, v26, vcc
	v_mov_b32_e32 v31, 0
	v_mov_b32_e32 v55, 0
	v_cmp_lt_i32_e64 s[62:63], 0, v1
	s_and_saveexec_b64 s[72:73], s[62:63]
	s_cbranch_execz .LBB4_1064
; %bb.1068:                             ;   in Loop: Header=BB4_1065 Depth=2
	global_load_dwordx4 v[10:13], v[2:3], off glc slc
	global_load_dwordx4 v[14:17], v[2:3], off offset:1024 glc slc
	buffer_load_dword v54, off, s[0:3], s33 offset:152 ; 4-byte Folded Reload
	buffer_load_dword v55, off, s[0:3], s33 offset:156 ; 4-byte Folded Reload
	v_add_co_u32_e32 v2, vcc, 0x800, v2
	v_addc_co_u32_e32 v3, vcc, 0, v3, vcc
	v_mov_b32_e32 v31, v28
	s_branch .LBB4_1064
.LBB4_1069:                             ;   in Loop: Header=BB4_987 Depth=1
	buffer_load_dword v15, off, s[0:3], s33 offset:200 ; 4-byte Folded Reload
	v_mov_b32_e32 v10, v31
	s_and_saveexec_b64 s[20:21], s[56:57]
	s_cbranch_execnz .LBB4_1090
	s_branch .LBB4_1110
.LBB4_1070:                             ;   in Loop: Header=BB4_987 Depth=1
	s_or_b64 exec, exec, s[58:59]
	s_and_b64 s[58:59], s[60:61], exec
	v_lshrrev_b32_e32 v2, 10, v52
.LBB4_1071:                             ;   in Loop: Header=BB4_987 Depth=1
	s_or_b64 exec, exec, s[20:21]
	s_and_saveexec_b64 s[20:21], s[58:59]
	s_cbranch_execz .LBB4_1073
; %bb.1072:                             ;   in Loop: Header=BB4_987 Depth=1
	global_store_dwordx4 v[60:61], v[10:13], off glc slc
	global_store_dwordx4 v[60:61], v[14:17], off offset:1024 glc slc
.LBB4_1073:                             ;   in Loop: Header=BB4_987 Depth=1
	s_or_b64 exec, exec, s[20:21]
	v_lshlrev_b32_e32 v2, 11, v2
	v_cmp_ne_u32_e32 vcc, v43, v2
                                        ; implicit-def: $vgpr14
                                        ; implicit-def: $vgpr15
                                        ; implicit-def: $vgpr10
	s_mov_b64 s[58:59], exec
	buffer_load_dword v60, off, s[0:3], s33 offset:212 ; 4-byte Folded Reload
	buffer_load_dword v61, off, s[0:3], s33 offset:216 ; 4-byte Folded Reload
	v_mov_b32_e32 v41, v9
	s_and_b64 s[20:21], s[58:59], vcc
	v_mov_b32_e32 v31, v29
	v_mov_b32_e32 v29, v0
	;; [unrolled: 1-line block ×4, first 2 shown]
	s_mov_b64 exec, s[20:21]
	s_cbranch_execz .LBB4_1089
; %bb.1074:                             ;   in Loop: Header=BB4_987 Depth=1
	buffer_load_dword v3, off, s[0:3], s33 offset:200 ; 4-byte Folded Reload
	v_lshlrev_b32_e32 v1, 6, v54
	v_sub_u32_e32 v10, v43, v2
	s_mov_b64 s[62:63], 0
	s_waitcnt vmcnt(0)
	v_sub_u32_e32 v1, v3, v1
	v_ashrrev_i32_e32 v3, 31, v1
	v_lshrrev_b32_e32 v3, 26, v3
	v_add_u32_e32 v3, v1, v3
	v_ashrrev_i32_e32 v11, 6, v3
	v_and_b32_e32 v3, 0xffffffc0, v3
	v_sub_u32_e32 v3, v1, v3
	v_lshlrev_b32_e32 v1, 4, v3
	v_lshl_add_u32 v12, v11, 10, v1
	v_add_u32_e32 v1, v12, v2
	v_sub_u32_e32 v25, v10, v12
	v_ashrrev_i32_e32 v12, 31, v10
	v_lshrrev_b32_e32 v12, 22, v12
	v_add_u32_e32 v12, v10, v12
	v_and_b32_e32 v22, 0xfffffc00, v12
	v_sub_u32_e32 v24, v10, v22
	v_ashrrev_i32_e32 v13, 10, v12
	v_cmp_lt_i32_e64 s[20:21], 15, v24
	v_addc_co_u32_e64 v10, vcc, 0, v13, s[20:21]
	v_ashrrev_i32_e32 v12, 31, v1
	v_add_co_u32_e32 v18, vcc, v1, v58
	v_addc_co_u32_e32 v19, vcc, v12, v59, vcc
	v_sub_u32_e32 v23, v10, v11
	v_cmp_lt_i32_e32 vcc, 15, v25
                                        ; implicit-def: $vgpr10_vgpr11
	s_and_saveexec_b64 s[60:61], vcc
	s_cbranch_execz .LBB4_1084
; %bb.1075:                             ;   in Loop: Header=BB4_987 Depth=1
	v_add_co_u32_e32 v20, vcc, v1, v56
	v_addc_co_u32_e32 v21, vcc, v12, v57, vcc
	s_mov_b64 s[74:75], 0
	v_lshlrev_b32_e32 v1, 10, v28
                                        ; implicit-def: $sgpr72_sgpr73
                                        ; implicit-def: $vgpr10_vgpr11
	s_branch .LBB4_1077
.LBB4_1076:                             ;   in Loop: Header=BB4_1077 Depth=2
	s_or_b64 exec, exec, s[76:77]
	v_cmp_gt_i32_e32 vcc, 16, v25
	s_or_b64 s[62:63], vcc, s[62:63]
	s_andn2_b64 s[72:73], s[72:73], exec
	s_and_b64 s[76:77], s[74:75], exec
	s_or_b64 s[72:73], s[72:73], s[76:77]
	s_andn2_b64 exec, exec, s[62:63]
	s_cbranch_execz .LBB4_1083
.LBB4_1077:                             ;   Parent Loop BB4_987 Depth=1
                                        ; =>  This Inner Loop Header: Depth=2
	global_load_dwordx4 v[14:17], v[20:21], off glc slc
	s_and_saveexec_b64 s[76:77], s[74:75]
	s_cbranch_execz .LBB4_1079
; %bb.1078:                             ;   in Loop: Header=BB4_1077 Depth=2
	v_add_co_u32_e32 v54, vcc, v18, v0
	v_addc_co_u32_e32 v55, vcc, v19, v42, vcc
	global_store_dwordx4 v[18:19], v[10:13], off glc slc
	v_mov_b32_e32 v18, v54
	v_mov_b32_e32 v19, v55
.LBB4_1079:                             ;   in Loop: Header=BB4_1077 Depth=2
	s_or_b64 exec, exec, s[76:77]
	v_add_co_u32_e32 v20, vcc, v20, v0
	v_sub_u32_e32 v25, v25, v1
	v_addc_co_u32_e32 v21, vcc, v21, v42, vcc
	v_cmp_lt_i32_e64 s[74:75], 15, v25
	s_and_saveexec_b64 s[76:77], s[74:75]
	s_cbranch_execz .LBB4_1081
; %bb.1080:                             ;   in Loop: Header=BB4_1077 Depth=2
	global_load_dwordx4 v[10:13], v[20:21], off glc slc
	v_add_co_u32_e32 v20, vcc, 0x400, v20
	v_addc_co_u32_e32 v21, vcc, 0, v21, vcc
.LBB4_1081:                             ;   in Loop: Header=BB4_1077 Depth=2
	s_or_b64 exec, exec, s[76:77]
	s_waitcnt vmcnt(0)
	global_store_dwordx4 v[18:19], v[14:17], off glc slc
	v_add_co_u32_e32 v18, vcc, 0x400, v18
	v_sub_u32_e32 v23, v23, v28
	v_addc_co_u32_e32 v19, vcc, 0, v19, vcc
	s_and_saveexec_b64 s[76:77], s[74:75]
	s_cbranch_execz .LBB4_1076
; %bb.1082:                             ;   in Loop: Header=BB4_1077 Depth=2
	v_add_co_u32_e32 v20, vcc, v20, v27
	v_addc_co_u32_e32 v21, vcc, v21, v29, vcc
	v_add_co_u32_e32 v18, vcc, v18, v27
	v_sub_u32_e32 v23, v23, v28
	v_sub_u32_e32 v25, v25, v1
	v_addc_co_u32_e32 v19, vcc, v19, v29, vcc
	s_branch .LBB4_1076
.LBB4_1083:                             ;   in Loop: Header=BB4_987 Depth=1
	s_or_b64 exec, exec, s[62:63]
	s_and_b64 s[62:63], s[72:73], exec
.LBB4_1084:                             ;   in Loop: Header=BB4_987 Depth=1
	s_or_b64 exec, exec, s[60:61]
	s_and_saveexec_b64 s[60:61], s[62:63]
	s_cbranch_execz .LBB4_1086
; %bb.1085:                             ;   in Loop: Header=BB4_987 Depth=1
	global_store_dwordx4 v[18:19], v[10:13], off glc slc
.LBB4_1086:                             ;   in Loop: Header=BB4_987 Depth=1
	s_or_b64 exec, exec, s[60:61]
	v_and_b32_e32 v1, 14, v43
	v_cndmask_b32_e64 v43, v24, v1, s[20:21]
	v_cmp_ne_u32_e32 vcc, 0, v43
	s_mov_b64 s[62:63], s[56:57]
                                        ; implicit-def: $vgpr14
                                        ; implicit-def: $vgpr15
                                        ; implicit-def: $vgpr10
	s_and_saveexec_b64 s[60:61], vcc
	s_cbranch_execz .LBB4_1088
; %bb.1087:                             ;   in Loop: Header=BB4_987 Depth=1
	v_sub_u32_e32 v1, v24, v1
	v_cndmask_b32_e64 v1, 0, v1, s[20:21]
	v_cmp_lt_i32_e32 vcc, 0, v23
	v_add3_u32 v14, v22, v2, v1
	v_cndmask_b32_e32 v1, 0, v28, vcc
	v_sub_u32_e32 v1, v1, v23
	v_lshl_add_u32 v1, v1, 6, v3
	v_ashrrev_i32_e32 v2, 31, v1
	v_lshrrev_b32_e32 v2, 26, v2
	v_add_u32_e32 v2, v1, v2
	v_ashrrev_i32_e32 v10, 6, v2
	v_and_b32_e32 v2, 0xffffffc0, v2
	v_sub_u32_e32 v15, v1, v2
	s_or_b64 s[62:63], s[56:57], exec
.LBB4_1088:                             ;   in Loop: Header=BB4_987 Depth=1
	s_or_b64 exec, exec, s[60:61]
	s_andn2_b64 s[20:21], s[56:57], exec
	s_and_b64 s[56:57], s[62:63], exec
	s_or_b64 s[56:57], s[20:21], s[56:57]
.LBB4_1089:                             ;   in Loop: Header=BB4_987 Depth=1
	s_or_b64 exec, exec, s[58:59]
	s_and_saveexec_b64 s[20:21], s[56:57]
	s_cbranch_execz .LBB4_1110
.LBB4_1090:                             ;   in Loop: Header=BB4_987 Depth=1
	v_lshlrev_b32_e32 v1, 9, v10
	s_waitcnt vmcnt(0)
	v_lshlrev_b32_e32 v2, 1, v15
	v_add3_u32 v1, v14, v2, v1
	v_ashrrev_i32_e32 v2, 31, v43
	v_lshrrev_b32_e32 v2, 23, v2
	v_add_u32_e32 v2, v43, v2
	v_ashrrev_i32_e32 v16, 9, v2
	v_sub_u32_e32 v12, v16, v10
	v_ashrrev_i32_e32 v3, 31, v1
	v_add_co_u32_e32 v10, vcc, v58, v1
	v_addc_co_u32_e32 v11, vcc, v59, v3, vcc
	v_cmp_lt_i32_e32 vcc, 0, v12
	s_mov_b64 s[58:59], 0
                                        ; implicit-def: $vgpr17
                                        ; implicit-def: $vgpr18
                                        ; implicit-def: $vgpr19
                                        ; implicit-def: $vgpr20
	s_and_saveexec_b64 s[56:57], vcc
	s_cbranch_execz .LBB4_1098
; %bb.1091:                             ;   in Loop: Header=BB4_987 Depth=1
	v_add_co_u32_e32 v2, vcc, v1, v56
	v_addc_co_u32_e32 v3, vcc, v3, v57, vcc
	s_mov_b64 s[62:63], 0
                                        ; implicit-def: $sgpr60_sgpr61
                                        ; implicit-def: $vgpr17
                                        ; implicit-def: $vgpr18
                                        ; implicit-def: $vgpr19
                                        ; implicit-def: $vgpr20
	s_branch .LBB4_1093
.LBB4_1092:                             ;   in Loop: Header=BB4_1093 Depth=2
	s_or_b64 exec, exec, s[72:73]
	s_waitcnt vmcnt(0) lgkmcnt(0)
	flat_store_short v[10:11], v1 glc slc
	flat_store_short v[10:11], v21 offset:128 glc slc
	flat_store_short v[10:11], v22 offset:256 glc slc
	;; [unrolled: 1-line block ×3, first 2 shown]
	v_add_co_u32_e32 v1, vcc, v10, v12
	v_addc_co_u32_e32 v11, vcc, v11, v13, vcc
	v_add_co_u32_e32 v10, vcc, 0x200, v1
	v_addc_co_u32_e32 v11, vcc, 0, v11, vcc
	;; [unrolled: 2-line block ×3, first 2 shown]
	v_sub_u32_e32 v12, v24, v25
	v_cmp_gt_i32_e32 vcc, 1, v12
	s_or_b64 s[58:59], vcc, s[58:59]
	s_andn2_b64 s[60:61], s[60:61], exec
	s_and_b64 s[72:73], s[62:63], exec
	s_or_b64 s[60:61], s[60:61], s[72:73]
	s_andn2_b64 exec, exec, s[58:59]
	s_cbranch_execz .LBB4_1097
.LBB4_1093:                             ;   Parent Loop BB4_987 Depth=1
                                        ; =>  This Inner Loop Header: Depth=2
	flat_load_ushort v1, v[2:3] glc slc
	flat_load_ushort v21, v[2:3] offset:128 glc slc
	flat_load_ushort v22, v[2:3] offset:256 glc slc
	;; [unrolled: 1-line block ×3, first 2 shown]
	s_and_saveexec_b64 s[72:73], s[62:63]
	s_cbranch_execz .LBB4_1095
; %bb.1094:                             ;   in Loop: Header=BB4_1093 Depth=2
	flat_store_short v[10:11], v17 glc slc
	flat_store_short v[10:11], v18 offset:128 glc slc
	flat_store_short v[10:11], v19 offset:256 glc slc
	;; [unrolled: 1-line block ×3, first 2 shown]
	v_add_co_u32_e32 v10, vcc, v10, v34
	v_addc_co_u32_e32 v11, vcc, v11, v35, vcc
.LBB4_1095:                             ;   in Loop: Header=BB4_1093 Depth=2
	s_or_b64 exec, exec, s[72:73]
	v_add_co_u32_e32 v2, vcc, v2, v34
	v_sub_u32_e32 v24, v12, v28
	v_mov_b32_e32 v12, 0
	v_addc_co_u32_e32 v3, vcc, v3, v35, vcc
	v_mov_b32_e32 v25, 0
	v_mov_b32_e32 v13, 0
	v_cmp_lt_i32_e64 s[62:63], 0, v24
	s_and_saveexec_b64 s[72:73], s[62:63]
	s_cbranch_execz .LBB4_1092
; %bb.1096:                             ;   in Loop: Header=BB4_1093 Depth=2
	flat_load_ushort v17, v[2:3] glc slc
	flat_load_ushort v18, v[2:3] offset:128 glc slc
	flat_load_ushort v19, v[2:3] offset:256 glc slc
	;; [unrolled: 1-line block ×3, first 2 shown]
	v_add_co_u32_e32 v2, vcc, 0x200, v2
	v_mov_b32_e32 v12, v40
	v_addc_co_u32_e32 v3, vcc, 0, v3, vcc
	v_mov_b32_e32 v25, v28
	v_mov_b32_e32 v13, v41
	s_branch .LBB4_1092
.LBB4_1097:                             ;   in Loop: Header=BB4_987 Depth=1
	s_or_b64 exec, exec, s[58:59]
	s_and_b64 s[58:59], s[60:61], exec
.LBB4_1098:                             ;   in Loop: Header=BB4_987 Depth=1
	s_or_b64 exec, exec, s[56:57]
	s_and_saveexec_b64 s[56:57], s[58:59]
	s_cbranch_execz .LBB4_1100
; %bb.1099:                             ;   in Loop: Header=BB4_987 Depth=1
	flat_store_short v[10:11], v17 glc slc
	flat_store_short v[10:11], v18 offset:128 glc slc
	flat_store_short v[10:11], v19 offset:256 glc slc
	;; [unrolled: 1-line block ×3, first 2 shown]
.LBB4_1100:                             ;   in Loop: Header=BB4_987 Depth=1
	s_or_b64 exec, exec, s[56:57]
	v_lshlrev_b32_e32 v1, 9, v16
	v_cmp_ne_u32_e32 vcc, v43, v1
	s_and_b64 exec, exec, vcc
	s_cbranch_execz .LBB4_1110
; %bb.1101:                             ;   in Loop: Header=BB4_987 Depth=1
	v_lshlrev_b32_e32 v2, 6, v12
	v_sub_u32_e32 v2, v15, v2
	v_ashrrev_i32_e32 v3, 31, v2
	v_lshrrev_b32_e32 v3, 26, v3
	v_add_u32_e32 v3, v2, v3
	v_and_b32_e32 v10, 0x7fffffc0, v3
	v_sub_u32_e32 v2, v2, v10
	v_lshlrev_b32_e32 v3, 1, v3
	v_and_b32_e32 v3, 0xffffff80, v3
	v_lshlrev_b32_e32 v2, 1, v2
	v_add3_u32 v2, v3, v2, v1
	v_sub_u32_e32 v1, v43, v2
	v_cmp_lt_i32_e32 vcc, 1, v1
	s_and_b64 exec, exec, vcc
	s_cbranch_execz .LBB4_1110
; %bb.1102:                             ;   in Loop: Header=BB4_987 Depth=1
	buffer_load_dword v8, off, s[0:3], s33 offset:180 ; 4-byte Folded Reload
	buffer_load_dword v9, off, s[0:3], s33 offset:184 ; 4-byte Folded Reload
	v_add_u32_e32 v2, v2, v14
	v_ashrrev_i32_e32 v3, 31, v2
	v_add_co_u32_e32 v10, vcc, v58, v2
	v_addc_co_u32_e32 v11, vcc, v59, v3, vcc
	v_add_co_u32_e32 v2, vcc, v2, v56
	v_addc_co_u32_e32 v3, vcc, v3, v57, vcc
	s_mov_b64 s[60:61], 0
	s_mov_b64 s[56:57], 0
                                        ; implicit-def: $sgpr58_sgpr59
                                        ; implicit-def: $vgpr14
	s_branch .LBB4_1104
.LBB4_1103:                             ;   in Loop: Header=BB4_1104 Depth=2
	s_or_b64 exec, exec, s[62:63]
	s_waitcnt lgkmcnt(0)
	flat_store_short v[10:11], v15 glc slc
	v_add_co_u32_e32 v10, vcc, v10, v12
	v_addc_co_u32_e32 v11, vcc, v11, v13, vcc
	v_add_co_u32_e32 v2, vcc, v2, v12
	v_addc_co_u32_e32 v3, vcc, v3, v13, vcc
	v_add_co_u32_e32 v10, vcc, 0x80, v10
	v_addc_co_u32_e32 v11, vcc, 0, v11, vcc
	v_sub_u32_e32 v1, v1, v16
	v_cmp_gt_i32_e32 vcc, 2, v1
	s_or_b64 s[56:57], vcc, s[56:57]
	s_andn2_b64 s[58:59], s[58:59], exec
	s_and_b64 s[62:63], s[60:61], exec
	s_or_b64 s[58:59], s[58:59], s[62:63]
	s_andn2_b64 exec, exec, s[56:57]
	s_cbranch_execz .LBB4_1108
.LBB4_1104:                             ;   Parent Loop BB4_987 Depth=1
                                        ; =>  This Inner Loop Header: Depth=2
	flat_load_ushort v15, v[2:3] glc slc
	s_and_saveexec_b64 s[62:63], s[60:61]
	s_cbranch_execz .LBB4_1106
; %bb.1105:                             ;   in Loop: Header=BB4_1104 Depth=2
	s_waitcnt vmcnt(0)
	v_add_co_u32_e32 v12, vcc, v10, v8
	v_addc_co_u32_e32 v13, vcc, v11, v9, vcc
	flat_store_short v[10:11], v14 glc slc
	v_mov_b32_e32 v10, v12
	v_mov_b32_e32 v11, v13
.LBB4_1106:                             ;   in Loop: Header=BB4_1104 Depth=2
	s_or_b64 exec, exec, s[62:63]
	s_waitcnt vmcnt(0)
	v_add_co_u32_e32 v2, vcc, v2, v8
	v_sub_u32_e32 v1, v1, v48
	v_mov_b32_e32 v12, 0
	v_addc_co_u32_e32 v3, vcc, v3, v9, vcc
	v_cmp_lt_i32_e64 s[60:61], 1, v1
	v_mov_b32_e32 v13, 0
	v_mov_b32_e32 v16, 0
	s_and_saveexec_b64 s[62:63], s[60:61]
	s_cbranch_execz .LBB4_1103
; %bb.1107:                             ;   in Loop: Header=BB4_1104 Depth=2
	flat_load_ushort v14, v[2:3] glc slc
	v_add_co_u32_e32 v2, vcc, 0x80, v2
	v_mov_b32_e32 v12, v60
	v_addc_co_u32_e32 v3, vcc, 0, v3, vcc
	v_mov_b32_e32 v16, v48
	v_mov_b32_e32 v13, v61
	s_branch .LBB4_1103
.LBB4_1108:                             ;   in Loop: Header=BB4_987 Depth=1
	s_or_b64 exec, exec, s[56:57]
	s_and_b64 exec, exec, s[58:59]
	s_cbranch_execz .LBB4_1110
; %bb.1109:                             ;   in Loop: Header=BB4_987 Depth=1
	s_waitcnt vmcnt(0)
	flat_store_short v[10:11], v14 glc slc
.LBB4_1110:                             ;   in Loop: Header=BB4_987 Depth=1
	s_or_b64 exec, exec, s[20:21]
	v_cmp_ne_u32_e64 s[20:21], 0, v52
	buffer_load_dword v16, off, s[0:3], s33 offset:180 ; 4-byte Folded Reload
	buffer_load_dword v17, off, s[0:3], s33 offset:184 ; 4-byte Folded Reload
	s_and_saveexec_b64 s[56:57], s[10:11]
	s_cbranch_execz .LBB4_1129
.LBB4_1111:                             ;   in Loop: Header=BB4_987 Depth=1
	s_and_saveexec_b64 s[58:59], s[28:29]
	s_xor_b64 s[58:59], exec, s[58:59]
	s_cbranch_execz .LBB4_1126
; %bb.1112:                             ;   in Loop: Header=BB4_987 Depth=1
	s_and_saveexec_b64 s[60:61], s[12:13]
	s_cbranch_execz .LBB4_1125
; %bb.1113:                             ;   in Loop: Header=BB4_987 Depth=1
	s_mov_b64 s[72:73], exec
	v_mbcnt_lo_u32_b32 v1, s72, 0
	v_mbcnt_hi_u32_b32 v1, s73, v1
	v_cmp_eq_u32_e32 vcc, 0, v1
	s_waitcnt vmcnt(0) lgkmcnt(0)
	buffer_wbinvl1_vol
	s_and_saveexec_b64 s[62:63], vcc
	s_cbranch_execz .LBB4_1115
; %bb.1114:                             ;   in Loop: Header=BB4_987 Depth=1
	s_bcnt1_i32_b64 s72, s[72:73]
	v_mov_b32_e32 v52, s72
	ds_add_u64 v0, v[52:53]
	s_trap 2
.LBB4_1115:                             ;   in Loop: Header=BB4_987 Depth=1
	s_or_b64 exec, exec, s[62:63]
	s_trap 2
	ds_read_b64 v[1:2], v0
	s_waitcnt lgkmcnt(0)
	v_mov_b32_e32 v10, v38
	v_mov_b32_e32 v11, v39
	v_add_co_u32_e32 v10, vcc, v10, v28
	v_addc_co_u32_e32 v11, vcc, 0, v11, vcc
	v_mov_b32_e32 v39, v11
	v_cmp_lt_u64_e32 vcc, v[1:2], v[10:11]
	v_mov_b32_e32 v38, v10
	s_and_saveexec_b64 s[62:63], vcc
	s_cbranch_execz .LBB4_1124
; %bb.1116:                             ;   in Loop: Header=BB4_987 Depth=1
	s_mov_b32 s92, 0
	s_mov_b64 s[72:73], 0
                                        ; implicit-def: $sgpr74_sgpr75
                                        ; implicit-def: $sgpr76_sgpr77
	s_branch .LBB4_1118
.LBB4_1117:                             ;   in Loop: Header=BB4_1118 Depth=2
	s_or_b64 exec, exec, s[88:89]
	s_and_b64 s[78:79], exec, s[90:91]
	s_or_b64 s[72:73], s[78:79], s[72:73]
	s_andn2_b64 s[74:75], s[74:75], exec
	s_and_b64 s[78:79], s[76:77], exec
	s_or_b64 s[74:75], s[74:75], s[78:79]
	s_andn2_b64 exec, exec, s[72:73]
	s_cbranch_execz .LBB4_1122
.LBB4_1118:                             ;   Parent Loop BB4_987 Depth=1
                                        ; =>  This Inner Loop Header: Depth=2
	s_add_i32 s92, s92, 1
	s_cmpk_lg_i32 s92, 0x2710
	s_cselect_b64 s[78:79], -1, 0
	s_and_b64 vcc, exec, s[78:79]
	s_cbranch_vccz .LBB4_1120
; %bb.1119:                             ;   in Loop: Header=BB4_1118 Depth=2
	s_mov_b64 s[90:91], -1
	s_or_b64 s[76:77], s[76:77], exec
	s_and_saveexec_b64 s[88:89], s[78:79]
	s_cbranch_execz .LBB4_1117
	s_branch .LBB4_1121
.LBB4_1120:                             ;   in Loop: Header=BB4_1118 Depth=2
	s_trap 2
	ds_read_b64 v[1:2], v0
	s_andn2_b64 s[78:79], s[78:79], exec
	s_mov_b32 s92, 0
	s_waitcnt lgkmcnt(0)
	flat_load_dword v1, v[1:2] glc
	s_waitcnt vmcnt(0) lgkmcnt(0)
	buffer_wbinvl1_vol
	v_cmp_eq_u32_e32 vcc, 0, v1
	s_and_b64 s[88:89], vcc, exec
	s_or_b64 s[78:79], s[78:79], s[88:89]
	s_mov_b64 s[90:91], -1
	s_or_b64 s[76:77], s[76:77], exec
	s_and_saveexec_b64 s[88:89], s[78:79]
	s_cbranch_execz .LBB4_1117
.LBB4_1121:                             ;   in Loop: Header=BB4_1118 Depth=2
	s_sleep 1
	s_trap 2
	ds_read_b64 v[1:2], v0
	s_waitcnt lgkmcnt(0)
	s_andn2_b64 s[76:77], s[76:77], exec
	v_cmp_ge_u64_e32 vcc, v[1:2], v[38:39]
	s_orn2_b64 s[90:91], vcc, exec
	s_branch .LBB4_1117
.LBB4_1122:                             ;   in Loop: Header=BB4_987 Depth=1
	s_or_b64 exec, exec, s[72:73]
	s_and_saveexec_b64 s[72:73], s[74:75]
	s_xor_b64 s[72:73], exec, s[72:73]
	s_cbranch_execz .LBB4_1124
; %bb.1123:                             ;   in Loop: Header=BB4_987 Depth=1
	v_mov_b32_e32 v1, 1
	ds_write_b32 v0, v1
	s_trap 2
.LBB4_1124:                             ;   in Loop: Header=BB4_987 Depth=1
	s_or_b64 exec, exec, s[62:63]
	;;#ASMSTART
	s_wakeup
	;;#ASMEND
.LBB4_1125:                             ;   in Loop: Header=BB4_987 Depth=1
	s_or_b64 exec, exec, s[60:61]
.LBB4_1126:                             ;   in Loop: Header=BB4_987 Depth=1
	s_andn2_saveexec_b64 s[58:59], s[58:59]
	s_cbranch_execz .LBB4_1128
; %bb.1127:                             ;   in Loop: Header=BB4_987 Depth=1
	s_waitcnt vmcnt(0) lgkmcnt(0)
	buffer_wbinvl1_vol
	s_barrier
.LBB4_1128:                             ;   in Loop: Header=BB4_987 Depth=1
	s_or_b64 exec, exec, s[58:59]
.LBB4_1129:                             ;   in Loop: Header=BB4_987 Depth=1
	s_or_b64 exec, exec, s[56:57]
	v_and_b32_e32 v1, 16, v62
	v_cmp_ne_u32_e32 vcc, 0, v1
	s_and_b64 s[56:57], vcc, s[20:21]
	s_and_saveexec_b64 s[20:21], s[56:57]
	s_cbranch_execz .LBB4_1131
; %bb.1130:                             ;   in Loop: Header=BB4_987 Depth=1
	s_waitcnt vmcnt(0) lgkmcnt(0)
	buffer_wbinvl1_vol
.LBB4_1131:                             ;   in Loop: Header=BB4_987 Depth=1
	s_or_b64 exec, exec, s[20:21]
	v_cmp_ne_u32_e32 vcc, 0, v1
	s_and_saveexec_b64 s[20:21], vcc
	s_cbranch_execz .LBB4_1135
; %bb.1132:                             ;   in Loop: Header=BB4_987 Depth=1
	s_and_saveexec_b64 s[56:57], s[18:19]
	s_cbranch_execz .LBB4_1134
; %bb.1133:                             ;   in Loop: Header=BB4_987 Depth=1
	buffer_load_dword v1, off, s[0:3], s33 offset:172 ; 4-byte Folded Reload
	buffer_load_dword v2, off, s[0:3], s33 offset:176 ; 4-byte Folded Reload
	v_mov_b32_e32 v3, 1
	s_waitcnt vmcnt(0)
	flat_store_dword v[1:2], v3
.LBB4_1134:                             ;   in Loop: Header=BB4_987 Depth=1
	s_or_b64 exec, exec, s[56:57]
	v_mov_b32_e32 v9, v7
	v_mov_b32_e32 v8, v6
	;; [unrolled: 1-line block ×4, first 2 shown]
	v_add_co_u32_e32 v8, vcc, 1, v8
	v_addc_co_u32_e32 v9, vcc, 0, v9, vcc
	v_mov_b32_e32 v4, v6
	v_mov_b32_e32 v5, v7
	;; [unrolled: 1-line block ×4, first 2 shown]
	flat_store_dwordx2 v[32:33], v[8:9]
.LBB4_1135:                             ;   in Loop: Header=BB4_987 Depth=1
	s_or_b64 exec, exec, s[20:21]
	v_mov_b32_e32 v1, v47
.LBB4_1136:                             ;   in Loop: Header=BB4_987 Depth=1
	s_or_b64 exec, exec, s[46:47]
	s_and_saveexec_b64 s[46:47], s[44:45]
	s_cbranch_execz .LBB4_986
; %bb.1137:                             ;   in Loop: Header=BB4_987 Depth=1
	v_sub_u32_e32 v1, v46, v1
	v_min_i32_e32 v10, v47, v1
	v_and_b32_e32 v1, 8, v62
	v_cmp_ne_u32_e32 vcc, 0, v1
	s_and_saveexec_b64 s[44:45], vcc
	s_cbranch_execz .LBB4_1159
; %bb.1138:                             ;   in Loop: Header=BB4_987 Depth=1
	v_add_co_u32_e32 v1, vcc, 8, v36
	s_waitcnt vmcnt(0) lgkmcnt(0)
	v_mov_b32_e32 v14, v7
	v_addc_co_u32_e32 v2, vcc, 0, v37, vcc
	v_mov_b32_e32 v13, v6
	v_mov_b32_e32 v12, v5
	v_add_co_u32_e32 v12, vcc, 1, v13
	v_addc_co_u32_e32 v13, vcc, 0, v14, vcc
	v_cmp_lt_u64_e32 vcc, v[1:2], v[12:13]
	v_mov_b32_e32 v11, v4
	s_and_saveexec_b64 s[56:57], vcc
	s_cbranch_execz .LBB4_1150
; %bb.1139:                             ;   in Loop: Header=BB4_987 Depth=1
	v_and_b32_e32 v1, 64, v62
	s_mov_b32 s92, 0
	v_cmp_eq_u32_e32 vcc, 0, v1
	s_mov_b64 s[58:59], 0
                                        ; implicit-def: $sgpr60_sgpr61
                                        ; implicit-def: $sgpr62_sgpr63
                                        ; implicit-def: $sgpr72_sgpr73
	s_branch .LBB4_1143
.LBB4_1140:                             ;   in Loop: Header=BB4_1143 Depth=2
	s_waitcnt vmcnt(0) lgkmcnt(0)
	v_add_co_u32_e64 v14, s[20:21], 8, v36
	v_addc_co_u32_e64 v15, s[20:21], 0, v37, s[20:21]
	v_cmp_ge_u64_e64 s[20:21], v[14:15], v[12:13]
	s_or_b64 s[78:79], s[78:79], exec
	s_orn2_b64 s[76:77], s[20:21], exec
.LBB4_1141:                             ;   in Loop: Header=BB4_1143 Depth=2
	s_or_b64 exec, exec, s[90:91]
	s_andn2_b64 s[20:21], s[72:73], exec
	s_and_b64 s[72:73], s[78:79], exec
	s_or_b64 s[72:73], s[20:21], s[72:73]
	s_andn2_b64 s[20:21], s[62:63], exec
	s_and_b64 s[62:63], s[76:77], exec
	s_or_b64 s[62:63], s[20:21], s[62:63]
.LBB4_1142:                             ;   in Loop: Header=BB4_1143 Depth=2
	s_or_b64 exec, exec, s[74:75]
	s_and_b64 s[20:21], exec, s[62:63]
	s_or_b64 s[58:59], s[20:21], s[58:59]
	s_andn2_b64 s[20:21], s[60:61], exec
	s_and_b64 s[60:61], s[72:73], exec
	s_or_b64 s[60:61], s[20:21], s[60:61]
	s_andn2_b64 exec, exec, s[58:59]
	s_cbranch_execz .LBB4_1147
.LBB4_1143:                             ;   Parent Loop BB4_987 Depth=1
                                        ; =>  This Inner Loop Header: Depth=2
	s_sleep 1
	s_waitcnt vmcnt(0) lgkmcnt(0)
	flat_load_dwordx2 v[36:37], v[32:33] glc
	s_or_b64 s[72:73], s[72:73], exec
	s_or_b64 s[62:63], s[62:63], exec
                                        ; implicit-def: $vgpr2
	s_and_saveexec_b64 s[74:75], vcc
	s_cbranch_execz .LBB4_1142
; %bb.1144:                             ;   in Loop: Header=BB4_1143 Depth=2
	s_cmpk_lt_i32 s92, 0x270f
	s_cselect_b64 s[88:89], -1, 0
	s_cmpk_gt_i32 s92, 0x270e
	s_mov_b64 s[76:77], -1
	s_cbranch_scc0 .LBB4_1146
; %bb.1145:                             ;   in Loop: Header=BB4_1143 Depth=2
	s_trap 2
	ds_read_b64 v[1:2], v0
	s_andn2_b64 s[88:89], s[88:89], exec
	s_mov_b32 s92, 0
	s_mov_b64 s[78:79], 0
	s_waitcnt vmcnt(0) lgkmcnt(0)
	flat_load_dword v2, v[1:2] glc
	s_waitcnt vmcnt(0) lgkmcnt(0)
	buffer_wbinvl1_vol
	v_cmp_eq_u32_e64 s[20:21], 0, v2
	s_and_b64 s[20:21], s[20:21], exec
	s_or_b64 s[88:89], s[88:89], s[20:21]
	s_and_saveexec_b64 s[90:91], s[88:89]
	s_cbranch_execz .LBB4_1141
	s_branch .LBB4_1140
.LBB4_1146:                             ;   in Loop: Header=BB4_1143 Depth=2
	s_add_i32 s92, s92, 1
	s_mov_b64 s[78:79], -1
                                        ; implicit-def: $vgpr2
	s_and_saveexec_b64 s[90:91], s[88:89]
	s_cbranch_execz .LBB4_1141
	s_branch .LBB4_1140
.LBB4_1147:                             ;   in Loop: Header=BB4_987 Depth=1
	s_or_b64 exec, exec, s[58:59]
	s_xor_b64 s[20:21], s[60:61], -1
	s_and_saveexec_b64 s[58:59], s[20:21]
	s_xor_b64 s[20:21], exec, s[58:59]
	s_cbranch_execz .LBB4_1149
; %bb.1148:                             ;   in Loop: Header=BB4_987 Depth=1
	v_or_b32_e32 v62, 64, v62
	s_waitcnt lgkmcnt(0)
	ds_write_b32 v0, v2
	s_trap 2
.LBB4_1149:                             ;   in Loop: Header=BB4_987 Depth=1
	s_or_b64 exec, exec, s[20:21]
.LBB4_1150:                             ;   in Loop: Header=BB4_987 Depth=1
	s_or_b64 exec, exec, s[56:57]
	v_and_b32_e32 v1, 0x100, v62
	v_cmp_ne_u32_e32 vcc, 0, v1
	v_and_b32_e32 v1, 7, v6
	s_mov_b64 s[20:21], -1
	;;#ASMSTART
	s_wakeup
	;;#ASMEND
                                        ; implicit-def: $vgpr2_vgpr3
	s_and_saveexec_b64 s[56:57], vcc
	s_cbranch_execz .LBB4_1154
; %bb.1151:                             ;   in Loop: Header=BB4_987 Depth=1
	v_mad_u64_u32 v[8:9], s[20:21], v1, 24, v[4:5]
	v_ashrrev_i32_e32 v11, 31, v10
	v_lshlrev_b64 v[2:3], 1, v[10:11]
	flat_load_dword v14, v[8:9]
	s_waitcnt vmcnt(0) lgkmcnt(0)
	v_cmp_ne_u32_e32 vcc, 1, v14
	v_cmp_eq_u32_e64 s[20:21], 1, v14
	flat_store_dwordx2 v[8:9], v[2:3] offset:8
                                        ; implicit-def: $vgpr2_vgpr3
	s_and_saveexec_b64 s[58:59], s[20:21]
	s_cbranch_execz .LBB4_1153
; %bb.1152:                             ;   in Loop: Header=BB4_987 Depth=1
	flat_load_dword v2, v[8:9] offset:4 glc
	s_waitcnt vmcnt(0) lgkmcnt(0)
	v_ashrrev_i32_e32 v3, 31, v2
	v_lshrrev_b64 v[2:3], 1, v[2:3]
.LBB4_1153:                             ;   in Loop: Header=BB4_987 Depth=1
	s_or_b64 exec, exec, s[58:59]
	s_orn2_b64 s[20:21], vcc, exec
.LBB4_1154:                             ;   in Loop: Header=BB4_987 Depth=1
	s_or_b64 exec, exec, s[56:57]
	s_and_saveexec_b64 s[56:57], s[20:21]
	s_cbranch_execz .LBB4_1156
; %bb.1155:                             ;   in Loop: Header=BB4_987 Depth=1
	buffer_load_dword v2, off, s[0:3], s33 offset:168 ; 4-byte Folded Reload
	s_waitcnt vmcnt(0)
	v_mad_i64_i32 v[2:3], s[20:21], v1, v2, 0
.LBB4_1156:                             ;   in Loop: Header=BB4_987 Depth=1
	s_or_b64 exec, exec, s[56:57]
	buffer_load_dword v8, off, s[0:3], s33 offset:128 ; 4-byte Folded Reload
	buffer_load_dword v9, off, s[0:3], s33 offset:132 ; 4-byte Folded Reload
	v_lshlrev_b64 v[1:2], 1, v[2:3]
	s_waitcnt vmcnt(0)
	v_add_co_u32_e32 v1, vcc, v8, v1
	v_addc_co_u32_e32 v2, vcc, v9, v2, vcc
	ds_write_b64 v0, v[1:2] offset:784
	v_and_b32_e32 v1, 0x2000, v62
	v_cmp_ne_u32_e32 vcc, 0, v1
	s_and_saveexec_b64 s[20:21], vcc
	s_cbranch_execz .LBB4_1158
; %bb.1157:                             ;   in Loop: Header=BB4_987 Depth=1
	ds_read_b64 v[1:2], v0 offset:872
	s_waitcnt lgkmcnt(0)
	v_add_co_u32_e32 v1, vcc, 1, v1
	v_addc_co_u32_e32 v2, vcc, 0, v2, vcc
	ds_write_b64 v0, v[1:2] offset:872
.LBB4_1158:                             ;   in Loop: Header=BB4_987 Depth=1
	s_or_b64 exec, exec, s[20:21]
	v_mov_b32_e32 v6, v12
	v_mov_b32_e32 v7, v13
.LBB4_1159:                             ;   in Loop: Header=BB4_987 Depth=1
	s_or_b64 exec, exec, s[44:45]
	s_and_saveexec_b64 s[20:21], s[10:11]
	s_cbranch_execz .LBB4_1178
; %bb.1160:                             ;   in Loop: Header=BB4_987 Depth=1
	s_and_saveexec_b64 s[44:45], s[28:29]
	s_xor_b64 s[44:45], exec, s[44:45]
	s_cbranch_execz .LBB4_1175
; %bb.1161:                             ;   in Loop: Header=BB4_987 Depth=1
	s_and_saveexec_b64 s[56:57], s[12:13]
	s_cbranch_execz .LBB4_1174
; %bb.1162:                             ;   in Loop: Header=BB4_987 Depth=1
	s_mov_b64 s[60:61], exec
	v_mbcnt_lo_u32_b32 v1, s60, 0
	v_mbcnt_hi_u32_b32 v1, s61, v1
	v_cmp_eq_u32_e32 vcc, 0, v1
	s_waitcnt vmcnt(0) lgkmcnt(0)
	buffer_wbinvl1_vol
	s_and_saveexec_b64 s[58:59], vcc
	s_cbranch_execz .LBB4_1164
; %bb.1163:                             ;   in Loop: Header=BB4_987 Depth=1
	s_bcnt1_i32_b64 s60, s[60:61]
	v_mov_b32_e32 v52, s60
	ds_add_u64 v0, v[52:53]
	s_trap 2
.LBB4_1164:                             ;   in Loop: Header=BB4_987 Depth=1
	s_or_b64 exec, exec, s[58:59]
	s_trap 2
	ds_read_b64 v[1:2], v0
	s_waitcnt lgkmcnt(0)
	v_mov_b32_e32 v11, v38
	v_mov_b32_e32 v12, v39
	v_add_co_u32_e32 v11, vcc, v11, v28
	v_addc_co_u32_e32 v12, vcc, 0, v12, vcc
	v_mov_b32_e32 v39, v12
	v_cmp_lt_u64_e32 vcc, v[1:2], v[11:12]
	v_mov_b32_e32 v38, v11
	s_and_saveexec_b64 s[58:59], vcc
	s_cbranch_execz .LBB4_1173
; %bb.1165:                             ;   in Loop: Header=BB4_987 Depth=1
	s_mov_b32 s88, 0
	s_mov_b64 s[60:61], 0
                                        ; implicit-def: $sgpr62_sgpr63
                                        ; implicit-def: $sgpr72_sgpr73
	s_branch .LBB4_1167
.LBB4_1166:                             ;   in Loop: Header=BB4_1167 Depth=2
	s_or_b64 exec, exec, s[76:77]
	s_and_b64 s[74:75], exec, s[78:79]
	s_or_b64 s[60:61], s[74:75], s[60:61]
	s_andn2_b64 s[62:63], s[62:63], exec
	s_and_b64 s[74:75], s[72:73], exec
	s_or_b64 s[62:63], s[62:63], s[74:75]
	s_andn2_b64 exec, exec, s[60:61]
	s_cbranch_execz .LBB4_1171
.LBB4_1167:                             ;   Parent Loop BB4_987 Depth=1
                                        ; =>  This Inner Loop Header: Depth=2
	s_add_i32 s88, s88, 1
	s_cmpk_lg_i32 s88, 0x2710
	s_cselect_b64 s[74:75], -1, 0
	s_and_b64 vcc, exec, s[74:75]
	s_cbranch_vccz .LBB4_1169
; %bb.1168:                             ;   in Loop: Header=BB4_1167 Depth=2
	s_mov_b64 s[78:79], -1
	s_or_b64 s[72:73], s[72:73], exec
	s_and_saveexec_b64 s[76:77], s[74:75]
	s_cbranch_execz .LBB4_1166
	s_branch .LBB4_1170
.LBB4_1169:                             ;   in Loop: Header=BB4_1167 Depth=2
	s_trap 2
	ds_read_b64 v[1:2], v0
	s_andn2_b64 s[74:75], s[74:75], exec
	s_mov_b32 s88, 0
	s_waitcnt lgkmcnt(0)
	flat_load_dword v1, v[1:2] glc
	s_waitcnt vmcnt(0) lgkmcnt(0)
	buffer_wbinvl1_vol
	v_cmp_eq_u32_e32 vcc, 0, v1
	s_and_b64 s[76:77], vcc, exec
	s_or_b64 s[74:75], s[74:75], s[76:77]
	s_mov_b64 s[78:79], -1
	s_or_b64 s[72:73], s[72:73], exec
	s_and_saveexec_b64 s[76:77], s[74:75]
	s_cbranch_execz .LBB4_1166
.LBB4_1170:                             ;   in Loop: Header=BB4_1167 Depth=2
	s_sleep 1
	s_trap 2
	ds_read_b64 v[1:2], v0
	s_waitcnt lgkmcnt(0)
	s_andn2_b64 s[72:73], s[72:73], exec
	v_cmp_ge_u64_e32 vcc, v[1:2], v[38:39]
	s_orn2_b64 s[78:79], vcc, exec
	s_branch .LBB4_1166
.LBB4_1171:                             ;   in Loop: Header=BB4_987 Depth=1
	s_or_b64 exec, exec, s[60:61]
	s_and_saveexec_b64 s[60:61], s[62:63]
	s_xor_b64 s[60:61], exec, s[60:61]
	s_cbranch_execz .LBB4_1173
; %bb.1172:                             ;   in Loop: Header=BB4_987 Depth=1
	v_mov_b32_e32 v1, 1
	ds_write_b32 v0, v1
	s_trap 2
.LBB4_1173:                             ;   in Loop: Header=BB4_987 Depth=1
	s_or_b64 exec, exec, s[58:59]
	;;#ASMSTART
	s_wakeup
	;;#ASMEND
.LBB4_1174:                             ;   in Loop: Header=BB4_987 Depth=1
	s_or_b64 exec, exec, s[56:57]
.LBB4_1175:                             ;   in Loop: Header=BB4_987 Depth=1
	s_andn2_saveexec_b64 s[44:45], s[44:45]
	s_cbranch_execz .LBB4_1177
; %bb.1176:                             ;   in Loop: Header=BB4_987 Depth=1
	s_waitcnt vmcnt(0) lgkmcnt(0)
	buffer_wbinvl1_vol
	s_barrier
.LBB4_1177:                             ;   in Loop: Header=BB4_987 Depth=1
	s_or_b64 exec, exec, s[44:45]
.LBB4_1178:                             ;   in Loop: Header=BB4_987 Depth=1
	s_or_b64 exec, exec, s[20:21]
	s_trap 2
	ds_read_b32 v2, v0
	v_cmp_lt_i32_e32 vcc, 0, v10
	v_and_b32_e32 v1, 16, v62
	s_waitcnt lgkmcnt(0)
	v_readfirstlane_b32 s20, v2
	s_cmp_eq_u32 s20, 0
	s_cselect_b64 s[20:21], -1, 0
	s_and_b64 s[20:21], vcc, s[20:21]
	v_cmp_ne_u32_e32 vcc, 0, v1
	s_and_b64 s[44:45], vcc, s[20:21]
	s_and_saveexec_b64 s[20:21], s[44:45]
	s_cbranch_execz .LBB4_1180
; %bb.1179:                             ;   in Loop: Header=BB4_987 Depth=1
	s_waitcnt vmcnt(0)
	buffer_wbinvl1_vol
.LBB4_1180:                             ;   in Loop: Header=BB4_987 Depth=1
	s_or_b64 exec, exec, s[20:21]
	v_cmp_ne_u32_e32 vcc, 0, v1
	s_and_saveexec_b64 s[20:21], vcc
	s_cbranch_execz .LBB4_985
; %bb.1181:                             ;   in Loop: Header=BB4_987 Depth=1
	s_and_saveexec_b64 s[44:45], s[18:19]
	s_cbranch_execz .LBB4_984
; %bb.1182:                             ;   in Loop: Header=BB4_987 Depth=1
	buffer_load_dword v1, off, s[0:3], s33 offset:172 ; 4-byte Folded Reload
	buffer_load_dword v2, off, s[0:3], s33 offset:176 ; 4-byte Folded Reload
	v_mov_b32_e32 v3, 1
	s_waitcnt vmcnt(0)
	flat_store_dword v[1:2], v3
	s_branch .LBB4_984
.LBB4_1183:
	s_or_b64 exec, exec, s[40:41]
	buffer_load_dword v24, off, s[0:3], s33 offset:188 ; 4-byte Folded Reload
	buffer_load_dword v25, off, s[0:3], s33 offset:220 ; 4-byte Folded Reload
	;; [unrolled: 1-line block ×3, first 2 shown]
.LBB4_1184:
	s_or_b64 exec, exec, s[26:27]
.LBB4_1185:
	s_or_b64 exec, exec, s[22:23]
	v_and_b32_e32 v0, 0x800, v62
	v_cmp_eq_u32_e32 vcc, 0, v0
	s_and_saveexec_b64 s[6:7], vcc
	s_cbranch_execz .LBB4_1218
; %bb.1186:
	v_and_b32_e32 v0, 48, v62
	v_cmp_ne_u32_e32 vcc, 0, v0
	s_and_saveexec_b64 s[4:5], vcc
	s_cbranch_execz .LBB4_1188
; %bb.1187:
	s_waitcnt vmcnt(0) lgkmcnt(0)
	flat_store_dwordx2 v[25:26], v[6:7] offset:104
.LBB4_1188:
	s_or_b64 exec, exec, s[4:5]
	s_movk_i32 s4, 0x88
	v_and_b32_e32 v0, 0x88, v62
	v_cmp_eq_u32_e32 vcc, s4, v0
	s_and_saveexec_b64 s[10:11], vcc
	s_cbranch_execz .LBB4_1198
; %bb.1189:
	s_waitcnt vmcnt(0) lgkmcnt(0)
	v_add_u32_e32 v0, -1, v6
	v_and_b32_e32 v0, 7, v0
	v_mad_u64_u32 v[4:5], s[4:5], v0, 24, v[4:5]
	v_and_b32_e32 v2, 64, v62
	v_cmp_eq_u32_e64 s[4:5], 0, v2
	flat_load_dwordx2 v[0:1], v[4:5] offset:8 glc
	s_waitcnt vmcnt(0)
	s_mov_b32 s22, 0
	s_waitcnt lgkmcnt(0)
	v_cmp_ne_u64_e32 vcc, -1, v[0:1]
	s_and_b64 s[4:5], vcc, s[4:5]
	s_and_b64 exec, exec, s[4:5]
	s_cbranch_execz .LBB4_1198
; %bb.1190:
	s_mov_b64 s[4:5], 0
                                        ; implicit-def: $sgpr12_sgpr13
                                        ; implicit-def: $sgpr14_sgpr15
	s_branch .LBB4_1193
.LBB4_1191:                             ;   in Loop: Header=BB4_1193 Depth=1
	flat_load_dwordx2 v[1:2], v[4:5] offset:8 glc
	s_waitcnt vmcnt(0)
	s_andn2_b64 s[14:15], s[14:15], exec
	s_waitcnt lgkmcnt(0)
	v_cmp_eq_u64_e32 vcc, -1, v[1:2]
	s_orn2_b64 s[18:19], vcc, exec
.LBB4_1192:                             ;   in Loop: Header=BB4_1193 Depth=1
	s_or_b64 exec, exec, s[20:21]
	s_and_b64 s[16:17], exec, s[18:19]
	s_or_b64 s[4:5], s[16:17], s[4:5]
	s_andn2_b64 s[12:13], s[12:13], exec
	s_and_b64 s[16:17], s[14:15], exec
	s_or_b64 s[12:13], s[12:13], s[16:17]
	s_andn2_b64 exec, exec, s[4:5]
	s_cbranch_execz .LBB4_1196
.LBB4_1193:                             ; =>This Inner Loop Header: Depth=1
	s_cmpk_lt_i32 s22, 0x270f
	s_cselect_b64 s[16:17], -1, 0
	s_and_b64 vcc, exec, s[16:17]
	s_cbranch_vccnz .LBB4_1195
; %bb.1194:                             ;   in Loop: Header=BB4_1193 Depth=1
	s_trap 2
	ds_read_b64 v[0:1], v0
	s_andn2_b64 s[16:17], s[16:17], exec
	s_mov_b32 s22, 0
	s_waitcnt lgkmcnt(0)
	flat_load_dword v0, v[0:1] glc
	s_waitcnt vmcnt(0) lgkmcnt(0)
	buffer_wbinvl1_vol
	v_cmp_eq_u32_e32 vcc, 0, v0
	s_and_b64 s[18:19], vcc, exec
	s_or_b64 s[16:17], s[16:17], s[18:19]
	s_mov_b64 s[18:19], -1
	s_or_b64 s[14:15], s[14:15], exec
	s_and_saveexec_b64 s[20:21], s[16:17]
	s_cbranch_execz .LBB4_1192
	s_branch .LBB4_1191
.LBB4_1195:                             ;   in Loop: Header=BB4_1193 Depth=1
	s_add_i32 s22, s22, 1
                                        ; implicit-def: $vgpr0
	s_mov_b64 s[18:19], -1
	s_or_b64 s[14:15], s[14:15], exec
	s_and_saveexec_b64 s[20:21], s[16:17]
	s_cbranch_execz .LBB4_1192
	s_branch .LBB4_1191
.LBB4_1196:
	s_or_b64 exec, exec, s[4:5]
	s_and_saveexec_b64 s[4:5], s[12:13]
	s_xor_b64 s[4:5], exec, s[4:5]
	s_cbranch_execz .LBB4_1198
; %bb.1197:
	ds_write_b32 v0, v0
	s_trap 2
.LBB4_1198:
	s_or_b64 exec, exec, s[10:11]
	v_and_b32_e32 v0, 0x2000, v62
	v_cmp_ne_u32_e32 vcc, 0, v0
	s_and_saveexec_b64 s[4:5], vcc
	s_cbranch_execz .LBB4_1200
; %bb.1199:
	s_trap 2
	ds_read_b64 v[0:1], v0
	buffer_load_dword v2, off, s[0:3], s33 offset:232 ; 4-byte Folded Reload
	buffer_load_dword v3, off, s[0:3], s33 offset:236 ; 4-byte Folded Reload
	s_waitcnt vmcnt(0) lgkmcnt(0)
	flat_store_dwordx2 v[2:3], v[0:1] offset:16
.LBB4_1200:
	s_or_b64 exec, exec, s[4:5]
	s_waitcnt vmcnt(0)
	v_cmp_ne_u32_e32 vcc, 64, v24
	s_and_b64 exec, exec, vcc
	s_cbranch_execz .LBB4_1218
; %bb.1201:
	buffer_load_dword v0, off, s[0:3], s33 offset:196 ; 4-byte Folded Reload
	s_waitcnt vmcnt(0)
	v_cmp_ne_u32_sdwa s[4:5], v24, v0 src0_sel:DWORD src1_sel:WORD_0
	s_and_saveexec_b64 s[10:11], s[4:5]
	s_xor_b64 s[4:5], exec, s[10:11]
	s_cbranch_execz .LBB4_1216
; %bb.1202:
	buffer_load_dword v0, off, s[0:3], s33 offset:192 ; 4-byte Folded Reload
	s_waitcnt vmcnt(0)
	v_and_b32_e32 v0, 63, v0
	v_cmp_eq_u32_e32 vcc, 0, v0
	s_and_saveexec_b64 s[10:11], vcc
	s_cbranch_execz .LBB4_1215
; %bb.1203:
	s_mov_b64 s[14:15], exec
	v_mbcnt_lo_u32_b32 v0, s14, 0
	v_mbcnt_hi_u32_b32 v0, s15, v0
	v_cmp_eq_u32_e32 vcc, 0, v0
	s_waitcnt lgkmcnt(0)
	buffer_wbinvl1_vol
	s_and_saveexec_b64 s[12:13], vcc
	s_cbranch_execz .LBB4_1205
; %bb.1204:
	s_bcnt1_i32_b64 s14, s[14:15]
	v_mov_b32_e32 v0, s14
	v_mov_b32_e32 v1, 0
	ds_add_u64 v0, v[0:1]
	s_trap 2
.LBB4_1205:
	s_or_b64 exec, exec, s[12:13]
	v_lshrrev_b32_e32 v0, 6, v24
	s_trap 2
	ds_read_b64 v[2:3], v0
	s_waitcnt lgkmcnt(0)
	v_add_co_u32_e32 v0, vcc, v38, v0
	v_addc_co_u32_e32 v1, vcc, 0, v39, vcc
	v_cmp_lt_u64_e32 vcc, v[2:3], v[0:1]
	s_and_saveexec_b64 s[12:13], vcc
	s_cbranch_execz .LBB4_1214
; %bb.1206:
	s_mov_b32 s28, 0
	s_mov_b64 s[14:15], 0
                                        ; implicit-def: $sgpr16_sgpr17
                                        ; implicit-def: $sgpr18_sgpr19
	s_branch .LBB4_1208
.LBB4_1207:                             ;   in Loop: Header=BB4_1208 Depth=1
	s_or_b64 exec, exec, s[22:23]
	s_and_b64 s[20:21], exec, s[26:27]
	s_or_b64 s[14:15], s[20:21], s[14:15]
	s_andn2_b64 s[16:17], s[16:17], exec
	s_and_b64 s[20:21], s[18:19], exec
	s_or_b64 s[16:17], s[16:17], s[20:21]
	s_andn2_b64 exec, exec, s[14:15]
	s_cbranch_execz .LBB4_1212
.LBB4_1208:                             ; =>This Inner Loop Header: Depth=1
	s_add_i32 s28, s28, 1
	s_cmpk_lg_i32 s28, 0x2710
	s_cselect_b64 s[20:21], -1, 0
	s_and_b64 vcc, exec, s[20:21]
	s_cbranch_vccz .LBB4_1210
; %bb.1209:                             ;   in Loop: Header=BB4_1208 Depth=1
	s_mov_b64 s[26:27], -1
	s_or_b64 s[18:19], s[18:19], exec
	s_and_saveexec_b64 s[22:23], s[20:21]
	s_cbranch_execz .LBB4_1207
	s_branch .LBB4_1211
.LBB4_1210:                             ;   in Loop: Header=BB4_1208 Depth=1
	s_trap 2
	ds_read_b64 v[2:3], v0
	s_andn2_b64 s[20:21], s[20:21], exec
	s_mov_b32 s28, 0
	s_waitcnt lgkmcnt(0)
	flat_load_dword v2, v[2:3] glc
	s_waitcnt vmcnt(0) lgkmcnt(0)
	buffer_wbinvl1_vol
	v_cmp_eq_u32_e32 vcc, 0, v2
	s_and_b64 s[22:23], vcc, exec
	s_or_b64 s[20:21], s[20:21], s[22:23]
	s_mov_b64 s[26:27], -1
	s_or_b64 s[18:19], s[18:19], exec
	s_and_saveexec_b64 s[22:23], s[20:21]
	s_cbranch_execz .LBB4_1207
.LBB4_1211:                             ;   in Loop: Header=BB4_1208 Depth=1
	s_sleep 1
	s_trap 2
	ds_read_b64 v[2:3], v0
	s_waitcnt lgkmcnt(0)
	s_andn2_b64 s[18:19], s[18:19], exec
	v_cmp_ge_u64_e32 vcc, v[2:3], v[0:1]
	s_orn2_b64 s[26:27], vcc, exec
	s_branch .LBB4_1207
.LBB4_1212:
	s_or_b64 exec, exec, s[14:15]
	s_and_saveexec_b64 s[14:15], s[16:17]
	s_xor_b64 s[14:15], exec, s[14:15]
	s_cbranch_execz .LBB4_1214
; %bb.1213:
	v_mov_b32_e32 v0, 1
	ds_write_b32 v0, v0
	s_trap 2
.LBB4_1214:
	s_or_b64 exec, exec, s[12:13]
	;;#ASMSTART
	s_wakeup
	;;#ASMEND
.LBB4_1215:
	s_or_b64 exec, exec, s[10:11]
.LBB4_1216:
	s_andn2_saveexec_b64 s[4:5], s[4:5]
	s_cbranch_execz .LBB4_1218
; %bb.1217:
	s_waitcnt lgkmcnt(0)
	buffer_wbinvl1_vol
	s_barrier
.LBB4_1218:
	s_or_b64 exec, exec, s[6:7]
.LBB4_1219:
	s_andn2_saveexec_b64 s[26:27], s[24:25]
	s_cbranch_execz .LBB4_1221
; %bb.1220:
	s_getpc_b64 s[4:5]
	s_add_u32 s4, s4, __PRETTY_FUNCTION__._ZN10PrimitivesI12hip_bfloat167FuncSumIS0_E12FanSymmetricILi1EELi0E11ProtoSimpleILi1ELi1ELi0ELi1ELi0ELi0EELi0ELb0ELi0ELi1ELi0EEC2EiiPKiS9_PKvPvmhhhP15ncclDevWorkCollP14ncclDevWorkP2pii@rel32@lo+4
	s_addc_u32 s5, s5, __PRETTY_FUNCTION__._ZN10PrimitivesI12hip_bfloat167FuncSumIS0_E12FanSymmetricILi1EELi0E11ProtoSimpleILi1ELi1ELi0ELi1ELi0ELi0EELi0ELb0ELi0ELi1ELi0EEC2EiiPKiS9_PKvPvmhhhP15ncclDevWorkCollP14ncclDevWorkP2pii@rel32@hi+12
	s_getpc_b64 s[6:7]
	s_add_u32 s6, s6, __assert_fail@rel32@lo+4
	s_addc_u32 s7, s7, __assert_fail@rel32@hi+12
	v_mov_b32_e32 v0, s4
	v_mov_b32_e32 v1, s5
	s_swappc_b64 s[30:31], s[6:7]
	; divergent unreachable
.LBB4_1221:
	s_or_b64 exec, exec, s[26:27]
	buffer_load_dword v62, off, s[0:3], s33 ; 4-byte Folded Reload
	buffer_load_dword v61, off, s[0:3], s33 offset:4 ; 4-byte Folded Reload
	buffer_load_dword v60, off, s[0:3], s33 offset:8 ; 4-byte Folded Reload
	;; [unrolled: 1-line block ×14, first 2 shown]
	v_readlane_b32 s30, v63, 10
	v_readlane_b32 s31, v63, 11
	;; [unrolled: 1-line block ×12, first 2 shown]
	s_mov_b32 s32, s33
	v_readlane_b32 s4, v63, 12
	s_or_saveexec_b64 s[6:7], -1
	buffer_load_dword v63, off, s[0:3], s33 offset:248 ; 4-byte Folded Reload
	s_mov_b64 exec, s[6:7]
	s_mov_b32 s33, s4
	s_waitcnt vmcnt(0) lgkmcnt(0)
	s_setpc_b64 s[30:31]
.Lfunc_end4:
	.size	_ZN12_GLOBAL__N_17runRingI12hip_bfloat167FuncSumIS1_E11ProtoSimpleILi1ELi1ELi0ELi1ELi0ELi0EELi0ELi1ELi1EEEviiP15ncclDevWorkColl, .Lfunc_end4-_ZN12_GLOBAL__N_17runRingI12hip_bfloat167FuncSumIS1_E11ProtoSimpleILi1ELi1ELi0ELi1ELi0ELi0EELi0ELi1ELi1EEEviiP15ncclDevWorkColl
                                        ; -- End function
	.set .L_ZN12_GLOBAL__N_17runRingI12hip_bfloat167FuncSumIS1_E11ProtoSimpleILi1ELi1ELi0ELi1ELi0ELi0EELi0ELi1ELi1EEEviiP15ncclDevWorkColl.num_vgpr, max(64, .L__assert_fail.num_vgpr)
	.set .L_ZN12_GLOBAL__N_17runRingI12hip_bfloat167FuncSumIS1_E11ProtoSimpleILi1ELi1ELi0ELi1ELi0ELi0EELi0ELi1ELi1EEEviiP15ncclDevWorkColl.num_agpr, max(0, .L__assert_fail.num_agpr)
	.set .L_ZN12_GLOBAL__N_17runRingI12hip_bfloat167FuncSumIS1_E11ProtoSimpleILi1ELi1ELi0ELi1ELi0ELi0EELi0ELi1ELi1EEEviiP15ncclDevWorkColl.numbered_sgpr, max(96, .L__assert_fail.numbered_sgpr)
	.set .L_ZN12_GLOBAL__N_17runRingI12hip_bfloat167FuncSumIS1_E11ProtoSimpleILi1ELi1ELi0ELi1ELi0ELi0EELi0ELi1ELi1EEEviiP15ncclDevWorkColl.num_named_barrier, max(0, .L__assert_fail.num_named_barrier)
	.set .L_ZN12_GLOBAL__N_17runRingI12hip_bfloat167FuncSumIS1_E11ProtoSimpleILi1ELi1ELi0ELi1ELi0ELi0EELi0ELi1ELi1EEEviiP15ncclDevWorkColl.private_seg_size, 256+max(.L__assert_fail.private_seg_size)
	.set .L_ZN12_GLOBAL__N_17runRingI12hip_bfloat167FuncSumIS1_E11ProtoSimpleILi1ELi1ELi0ELi1ELi0ELi0EELi0ELi1ELi1EEEviiP15ncclDevWorkColl.uses_vcc, or(1, .L__assert_fail.uses_vcc)
	.set .L_ZN12_GLOBAL__N_17runRingI12hip_bfloat167FuncSumIS1_E11ProtoSimpleILi1ELi1ELi0ELi1ELi0ELi0EELi0ELi1ELi1EEEviiP15ncclDevWorkColl.uses_flat_scratch, or(0, .L__assert_fail.uses_flat_scratch)
	.set .L_ZN12_GLOBAL__N_17runRingI12hip_bfloat167FuncSumIS1_E11ProtoSimpleILi1ELi1ELi0ELi1ELi0ELi0EELi0ELi1ELi1EEEviiP15ncclDevWorkColl.has_dyn_sized_stack, or(0, .L__assert_fail.has_dyn_sized_stack)
	.set .L_ZN12_GLOBAL__N_17runRingI12hip_bfloat167FuncSumIS1_E11ProtoSimpleILi1ELi1ELi0ELi1ELi0ELi0EELi0ELi1ELi1EEEviiP15ncclDevWorkColl.has_recursion, or(1, .L__assert_fail.has_recursion)
	.set .L_ZN12_GLOBAL__N_17runRingI12hip_bfloat167FuncSumIS1_E11ProtoSimpleILi1ELi1ELi0ELi1ELi0ELi0EELi0ELi1ELi1EEEviiP15ncclDevWorkColl.has_indirect_call, or(0, .L__assert_fail.has_indirect_call)
	.section	.AMDGPU.csdata,"",@progbits
; Function info:
; codeLenInByte = 36076
; TotalNumSgprs: 100
; NumVgprs: 64
; ScratchSize: 320
; MemoryBound: 1
	.text
	.p2align	2                               ; -- Begin function _Z45ncclDevFunc_Reduce_RING_SIMPLE_Sum_bf16_0_1_1v
	.type	_Z45ncclDevFunc_Reduce_RING_SIMPLE_Sum_bf16_0_1_1v,@function
_Z45ncclDevFunc_Reduce_RING_SIMPLE_Sum_bf16_0_1_1v: ; @_Z45ncclDevFunc_Reduce_RING_SIMPLE_Sum_bf16_0_1_1v
; %bb.0:
	s_waitcnt vmcnt(0) expcnt(0) lgkmcnt(0)
	s_mov_b32 s4, s33
	s_mov_b32 s33, s32
	s_or_saveexec_b64 s[6:7], -1
	buffer_store_dword v43, off, s[0:3], s33 offset:16 ; 4-byte Folded Spill
	s_mov_b64 exec, s[6:7]
	v_writelane_b32 v43, s4, 18
	s_addk_i32 s32, 0x800
	buffer_store_dword v40, off, s[0:3], s33 offset:12 ; 4-byte Folded Spill
	buffer_store_dword v41, off, s[0:3], s33 offset:8 ; 4-byte Folded Spill
	;; [unrolled: 1-line block ×3, first 2 shown]
	buffer_store_dword v63, off, s[0:3], s33 ; 4-byte Folded Spill
	v_writelane_b32 v43, s34, 0
	v_writelane_b32 v43, s35, 1
	;; [unrolled: 1-line block ×18, first 2 shown]
	s_trap 2
	ds_read_b32 v0, v0
	v_mov_b32_e32 v40, v31
	s_mov_b32 s54, s12
	s_mov_b64 s[52:53], s[8:9]
	s_waitcnt lgkmcnt(0)
	v_cmp_gt_i32_e32 vcc, 1, v0
	s_cbranch_vccnz .LBB5_8
; %bb.1:
	s_mov_b32 s55, 0
	v_and_b32_e32 v41, 0x3ff, v40
	v_mov_b32_e32 v42, 6
	s_branch .LBB5_3
.LBB5_2:                                ;   in Loop: Header=BB5_3 Depth=1
	s_or_b64 exec, exec, s[64:65]
	s_trap 2
	ds_read_b32 v0, v0
	s_add_i32 s55, s55, 1
	s_waitcnt lgkmcnt(0)
	v_cmp_lt_i32_e32 vcc, s55, v0
	s_cbranch_vccz .LBB5_8
.LBB5_3:                                ; =>This Inner Loop Header: Depth=1
	s_trap 2
	ds_read_b32 v0, v0
	s_cmp_eq_u32 s55, 0
	s_cbranch_scc1 .LBB5_6
; %bb.4:                                ;   in Loop: Header=BB5_3 Depth=1
	s_trap 2
	s_waitcnt lgkmcnt(0)
	ds_read_b32 v1, v0
	s_waitcnt lgkmcnt(0)
	v_xor_b32_e32 v1, v1, v0
	v_and_b32_e32 v1, 0xff0000, v1
	v_cmp_eq_u32_e32 vcc, 0, v1
	s_cbranch_vccnz .LBB5_6
; %bb.5:                                ;   in Loop: Header=BB5_3 Depth=1
	s_waitcnt vmcnt(0)
	s_barrier
	ds_read_b32 v0, v0
.LBB5_6:                                ;   in Loop: Header=BB5_3 Depth=1
	s_waitcnt lgkmcnt(0)
	v_lshlrev_b32_sdwa v1, v42, v0 dst_sel:DWORD dst_unused:UNUSED_PAD src0_sel:DWORD src1_sel:BYTE_2
	v_cmp_lt_u32_e32 vcc, v41, v1
	s_and_saveexec_b64 s[64:65], vcc
	s_cbranch_execz .LBB5_2
; %bb.7:                                ;   in Loop: Header=BB5_3 Depth=1
	s_mov_b64 s[4:5], src_shared_base
	s_getpc_b64 s[6:7]
	s_add_u32 s6, s6, _ZN12_GLOBAL__N_17runRingI12hip_bfloat167FuncSumIS1_E11ProtoSimpleILi1ELi1ELi0ELi1ELi0ELi0EELi0ELi1ELi1EEEviiP15ncclDevWorkColl@rel32@lo+4
	s_addc_u32 s7, s7, _ZN12_GLOBAL__N_17runRingI12hip_bfloat167FuncSumIS1_E11ProtoSimpleILi1ELi1ELi0ELi1ELi0ELi0EELi0ELi1ELi1EEEviiP15ncclDevWorkColl@rel32@hi+12
	s_mov_b64 s[8:9], s[52:53]
	s_mov_b32 s12, s54
	v_mov_b32_e32 v31, v40
	v_mov_b32_e32 v0, v41
	;; [unrolled: 1-line block ×3, first 2 shown]
	s_swappc_b64 s[30:31], s[6:7]
	s_branch .LBB5_2
.LBB5_8:
	buffer_load_dword v63, off, s[0:3], s33 ; 4-byte Folded Reload
	buffer_load_dword v42, off, s[0:3], s33 offset:4 ; 4-byte Folded Reload
	buffer_load_dword v41, off, s[0:3], s33 offset:8 ; 4-byte Folded Reload
	;; [unrolled: 1-line block ×3, first 2 shown]
	v_readlane_b32 s30, v43, 16
	v_readlane_b32 s31, v43, 17
	;; [unrolled: 1-line block ×18, first 2 shown]
	s_mov_b32 s32, s33
	v_readlane_b32 s4, v43, 18
	s_or_saveexec_b64 s[6:7], -1
	buffer_load_dword v43, off, s[0:3], s33 offset:16 ; 4-byte Folded Reload
	s_mov_b64 exec, s[6:7]
	s_mov_b32 s33, s4
	s_waitcnt vmcnt(0)
	s_setpc_b64 s[30:31]
.Lfunc_end5:
	.size	_Z45ncclDevFunc_Reduce_RING_SIMPLE_Sum_bf16_0_1_1v, .Lfunc_end5-_Z45ncclDevFunc_Reduce_RING_SIMPLE_Sum_bf16_0_1_1v
                                        ; -- End function
	.set .L_Z45ncclDevFunc_Reduce_RING_SIMPLE_Sum_bf16_0_1_1v.num_vgpr, max(64, .L_ZN12_GLOBAL__N_17runRingI12hip_bfloat167FuncSumIS1_E11ProtoSimpleILi1ELi1ELi0ELi1ELi0ELi0EELi0ELi1ELi1EEEviiP15ncclDevWorkColl.num_vgpr)
	.set .L_Z45ncclDevFunc_Reduce_RING_SIMPLE_Sum_bf16_0_1_1v.num_agpr, max(0, .L_ZN12_GLOBAL__N_17runRingI12hip_bfloat167FuncSumIS1_E11ProtoSimpleILi1ELi1ELi0ELi1ELi0ELi0EELi0ELi1ELi1EEEviiP15ncclDevWorkColl.num_agpr)
	.set .L_Z45ncclDevFunc_Reduce_RING_SIMPLE_Sum_bf16_0_1_1v.numbered_sgpr, max(66, .L_ZN12_GLOBAL__N_17runRingI12hip_bfloat167FuncSumIS1_E11ProtoSimpleILi1ELi1ELi0ELi1ELi0ELi0EELi0ELi1ELi1EEEviiP15ncclDevWorkColl.numbered_sgpr)
	.set .L_Z45ncclDevFunc_Reduce_RING_SIMPLE_Sum_bf16_0_1_1v.num_named_barrier, max(0, .L_ZN12_GLOBAL__N_17runRingI12hip_bfloat167FuncSumIS1_E11ProtoSimpleILi1ELi1ELi0ELi1ELi0ELi0EELi0ELi1ELi1EEEviiP15ncclDevWorkColl.num_named_barrier)
	.set .L_Z45ncclDevFunc_Reduce_RING_SIMPLE_Sum_bf16_0_1_1v.private_seg_size, 32+max(.L_ZN12_GLOBAL__N_17runRingI12hip_bfloat167FuncSumIS1_E11ProtoSimpleILi1ELi1ELi0ELi1ELi0ELi0EELi0ELi1ELi1EEEviiP15ncclDevWorkColl.private_seg_size)
	.set .L_Z45ncclDevFunc_Reduce_RING_SIMPLE_Sum_bf16_0_1_1v.uses_vcc, or(1, .L_ZN12_GLOBAL__N_17runRingI12hip_bfloat167FuncSumIS1_E11ProtoSimpleILi1ELi1ELi0ELi1ELi0ELi0EELi0ELi1ELi1EEEviiP15ncclDevWorkColl.uses_vcc)
	.set .L_Z45ncclDevFunc_Reduce_RING_SIMPLE_Sum_bf16_0_1_1v.uses_flat_scratch, or(0, .L_ZN12_GLOBAL__N_17runRingI12hip_bfloat167FuncSumIS1_E11ProtoSimpleILi1ELi1ELi0ELi1ELi0ELi0EELi0ELi1ELi1EEEviiP15ncclDevWorkColl.uses_flat_scratch)
	.set .L_Z45ncclDevFunc_Reduce_RING_SIMPLE_Sum_bf16_0_1_1v.has_dyn_sized_stack, or(0, .L_ZN12_GLOBAL__N_17runRingI12hip_bfloat167FuncSumIS1_E11ProtoSimpleILi1ELi1ELi0ELi1ELi0ELi0EELi0ELi1ELi1EEEviiP15ncclDevWorkColl.has_dyn_sized_stack)
	.set .L_Z45ncclDevFunc_Reduce_RING_SIMPLE_Sum_bf16_0_1_1v.has_recursion, or(1, .L_ZN12_GLOBAL__N_17runRingI12hip_bfloat167FuncSumIS1_E11ProtoSimpleILi1ELi1ELi0ELi1ELi0ELi0EELi0ELi1ELi1EEEviiP15ncclDevWorkColl.has_recursion)
	.set .L_Z45ncclDevFunc_Reduce_RING_SIMPLE_Sum_bf16_0_1_1v.has_indirect_call, or(0, .L_ZN12_GLOBAL__N_17runRingI12hip_bfloat167FuncSumIS1_E11ProtoSimpleILi1ELi1ELi0ELi1ELi0ELi0EELi0ELi1ELi1EEEviiP15ncclDevWorkColl.has_indirect_call)
	.section	.AMDGPU.csdata,"",@progbits
; Function info:
; codeLenInByte = 672
; TotalNumSgprs: 100
; NumVgprs: 64
; ScratchSize: 352
; MemoryBound: 0
	.text
	.p2align	2                               ; -- Begin function _ZN12_GLOBAL__N_17runRingI12hip_bfloat167FuncSumIS1_E11ProtoSimpleILi1ELi1ELi0ELi2ELi0ELi0EELi0ELi2ELi0EEEviiP15ncclDevWorkColl
	.type	_ZN12_GLOBAL__N_17runRingI12hip_bfloat167FuncSumIS1_E11ProtoSimpleILi1ELi1ELi0ELi2ELi0ELi0EELi0ELi2ELi0EEEviiP15ncclDevWorkColl,@function
_ZN12_GLOBAL__N_17runRingI12hip_bfloat167FuncSumIS1_E11ProtoSimpleILi1ELi1ELi0ELi2ELi0ELi0EELi0ELi2ELi0EEEviiP15ncclDevWorkColl: ; @_ZN12_GLOBAL__N_17runRingI12hip_bfloat167FuncSumIS1_E11ProtoSimpleILi1ELi1ELi0ELi2ELi0ELi0EELi0ELi2ELi0EEEviiP15ncclDevWorkColl
; %bb.0:
	s_waitcnt vmcnt(0) expcnt(0) lgkmcnt(0)
	s_mov_b32 s4, s33
	s_mov_b32 s33, s32
	s_or_saveexec_b64 s[6:7], -1
	buffer_store_dword v63, off, s[0:3], s33 offset:132 ; 4-byte Folded Spill
	s_mov_b64 exec, s[6:7]
	v_writelane_b32 v63, s4, 7
	s_addk_i32 s32, 0x2400
	buffer_store_dword v40, off, s[0:3], s33 offset:56 ; 4-byte Folded Spill
	buffer_store_dword v41, off, s[0:3], s33 offset:52 ; 4-byte Folded Spill
	;; [unrolled: 1-line block ×14, first 2 shown]
	buffer_store_dword v62, off, s[0:3], s33 ; 4-byte Folded Spill
	v_writelane_b32 v63, s34, 0
	v_writelane_b32 v63, s35, 1
	;; [unrolled: 1-line block ×7, first 2 shown]
	s_trap 2
	ds_read_b64 v[14:15], v0
	ds_read_b32 v6, v0
	v_mov_b32_e32 v47, v1
	v_mov_b32_e32 v49, v0
	flat_load_ushort v16, v[2:3] offset:8
	flat_load_dwordx2 v[8:9], v[2:3]
	s_waitcnt lgkmcnt(0)
	v_ashrrev_i32_e32 v1, 31, v15
	v_mov_b32_e32 v0, v15
	v_lshlrev_b64 v[0:1], 2, v[0:1]
                                        ; implicit-def: $vgpr17_vgpr18
                                        ; implicit-def: $vgpr34_vgpr35
	v_add_co_u32_e32 v0, vcc, v14, v0
	v_addc_co_u32_e32 v1, vcc, v15, v1, vcc
	v_add_co_u32_e32 v0, vcc, -4, v0
	v_addc_co_u32_e32 v1, vcc, -1, v1, vcc
	flat_load_dword v25, v[0:1]
                                        ; implicit-def: $vgpr0_vgpr1
                                        ; kill: killed $vgpr0_vgpr1
	s_waitcnt vmcnt(0)
	v_mov_b32_e32 v15, v9
	v_cmp_ne_u32_sdwa s[4:5], v6, v8 src0_sel:DWORD src1_sel:BYTE_0
	s_and_saveexec_b64 s[6:7], s[4:5]
	s_xor_b64 s[4:5], exec, s[6:7]
	s_cbranch_execz .LBB6_6
; %bb.1:
	v_not_b32_sdwa v9, v8 dst_sel:DWORD dst_unused:UNUSED_PAD src0_sel:BYTE_0
	v_cmp_ne_u32_sdwa s[6:7], v6, v8 src0_sel:DWORD src1_sel:BYTE_1
                                        ; implicit-def: $vgpr17_vgpr18
                                        ; implicit-def: $vgpr34_vgpr35
                                        ; implicit-def: $vgpr0_vgpr1
                                        ; kill: killed $vgpr0_vgpr1
	s_and_saveexec_b64 s[10:11], s[6:7]
	s_xor_b64 s[6:7], exec, s[10:11]
	s_cbranch_execz .LBB6_3
; %bb.2:
	flat_load_dwordx4 v[10:13], v[2:3] offset:72
	flat_load_dwordx2 v[0:1], v[2:3] offset:96
	v_add_u32_e32 v4, v6, v9
	v_ashrrev_i32_e32 v5, 31, v4
                                        ; implicit-def: $vgpr8
                                        ; implicit-def: $vgpr9
	s_waitcnt vmcnt(0) lgkmcnt(0)
	v_mul_lo_u32 v5, v12, v5
	v_mad_u64_u32 v[6:7], s[10:11], v12, v4, v[10:11]
	v_mul_lo_u32 v4, v13, v4
	v_mov_b32_e32 v35, v13
	v_lshrrev_b64 v[17:18], 13, v[0:1]
	v_mov_b32_e32 v34, v12
	v_add3_u32 v7, v4, v7, v5
	buffer_store_dword v6, off, s[0:3], s33 offset:60 ; 4-byte Folded Spill
	s_nop 0
	buffer_store_dword v7, off, s[0:3], s33 offset:64 ; 4-byte Folded Spill
.LBB6_3:
	s_andn2_saveexec_b64 s[6:7], s[6:7]
	s_cbranch_execz .LBB6_5
; %bb.4:
	flat_load_dwordx4 v[10:13], v[2:3] offset:72
	flat_load_dwordx4 v[34:37], v[2:3] offset:88
	v_add_u32_sdwa v0, v8, v9 dst_sel:DWORD dst_unused:UNUSED_PAD src0_sel:BYTE_1 src1_sel:DWORD
	v_ashrrev_i32_e32 v1, 31, v0
	s_waitcnt vmcnt(0) lgkmcnt(0)
	v_mul_lo_u32 v1, v12, v1
	v_mad_u64_u32 v[4:5], s[10:11], v12, v0, v[10:11]
	v_mul_lo_u32 v0, v13, v0
	v_lshrrev_b32_e32 v17, 2, v37
	v_add3_u32 v5, v0, v5, v1
	buffer_store_dword v4, off, s[0:3], s33 offset:60 ; 4-byte Folded Spill
	s_nop 0
	buffer_store_dword v5, off, s[0:3], s33 offset:64 ; 4-byte Folded Spill
.LBB6_5:
	s_or_b64 exec, exec, s[6:7]
.LBB6_6:
	s_andn2_saveexec_b64 s[4:5], s[4:5]
	s_cbranch_execz .LBB6_8
; %bb.7:
	flat_load_dwordx2 v[0:1], v[2:3] offset:96
	flat_load_dwordx2 v[34:35], v[2:3] offset:72
	s_waitcnt vmcnt(0) lgkmcnt(0)
	v_lshlrev_b64 v[17:18], 8, v[0:1]
	v_mov_b32_e32 v0, 0
	v_mov_b32_e32 v1, 0
	buffer_store_dword v0, off, s[0:3], s33 offset:60 ; 4-byte Folded Spill
	s_nop 0
	buffer_store_dword v1, off, s[0:3], s33 offset:64 ; 4-byte Folded Spill
.LBB6_8:
	s_or_b64 exec, exec, s[4:5]
	s_trap 2
	ds_read_b64 v[0:1], v0
	s_waitcnt lgkmcnt(0)
	v_cmp_ne_u32_e32 vcc, -1, v0
	v_cndmask_b32_e64 v24, 0, 1, vcc
	v_cmp_ne_u32_e32 vcc, -1, v1
	v_addc_co_u32_e64 v6, s[4:5], 0, v24, vcc
	v_lshlrev_b32_e32 v0, 1, v6
	v_cmp_le_u32_e64 s[4:5], v0, v47
	s_and_saveexec_b64 s[6:7], s[4:5]
	s_xor_b64 s[22:23], exec, s[6:7]
	s_cbranch_execz .LBB6_873
; %bb.9:
	flat_load_dwordx4 v[10:13], v[2:3] offset:16
	flat_load_dwordx2 v[18:19], v[2:3] offset:104
	s_trap 2
	s_load_dword s4, s[8:9], 0x0
	v_mov_b32_e32 v0, 0
	v_mov_b32_e32 v60, 4
	s_waitcnt lgkmcnt(0)
	s_cmp_lt_u32 s12, s4
	s_cselect_b32 s4, 12, 18
	s_add_u32 s4, s8, s4
	s_addc_u32 s5, s9, 0
	global_load_ushort v61, v0, s[4:5]
	ds_read_b32 v0, v0
	v_cmp_ge_i32_e64 s[4:5], v49, v24
	s_waitcnt lgkmcnt(0)
	v_readfirstlane_b32 s12, v0
	s_and_saveexec_b64 s[6:7], s[4:5]
	s_cbranch_execz .LBB6_19
; %bb.10:
	v_cmp_ge_u32_e64 s[4:5], v49, v6
                                        ; implicit-def: $vgpr60
	s_and_saveexec_b64 s[10:11], s[4:5]
	s_xor_b64 s[4:5], exec, s[10:11]
	s_cbranch_execz .LBB6_16
; %bb.11:
	v_cndmask_b32_e64 v0, 0, 1, vcc
	v_sub_u32_e32 v0, v47, v0
	v_cmp_ge_u32_e32 vcc, v49, v0
	s_and_saveexec_b64 s[10:11], vcc
	s_xor_b64 s[10:11], exec, s[10:11]
; %bb.12:
                                        ; implicit-def: $vgpr6
; %bb.13:
	s_or_saveexec_b64 s[10:11], s[10:11]
	v_mov_b32_e32 v60, 16
	s_xor_b64 exec, exec, s[10:11]
; %bb.14:
	v_sub_u32_e32 v0, v47, v6
	v_cmp_lt_i32_e32 vcc, v49, v0
	v_cndmask_b32_e64 v60, 32, 0, vcc
; %bb.15:
	s_or_b64 exec, exec, s[10:11]
.LBB6_16:
	s_andn2_saveexec_b64 s[4:5], s[4:5]
; %bb.17:
	v_mov_b32_e32 v60, 8
; %bb.18:
	s_or_b64 exec, exec, s[4:5]
.LBB6_19:
	s_or_b64 exec, exec, s[6:7]
	v_and_b32_e32 v0, 36, v60
	v_cmp_ne_u32_e32 vcc, 0, v0
	v_mov_b32_e32 v20, -1
	s_and_saveexec_b64 s[4:5], vcc
	s_cbranch_execz .LBB6_21
; %bb.20:
	s_trap 2
	ds_read_b32 v20, v0
.LBB6_21:
	s_or_b64 exec, exec, s[4:5]
	v_and_b32_e32 v0, 24, v60
	v_cmp_ne_u32_e64 s[4:5], 0, v0
	s_and_saveexec_b64 s[6:7], s[4:5]
	s_cbranch_execz .LBB6_23
; %bb.22:
	s_trap 2
	s_waitcnt lgkmcnt(0)
	ds_read_b32 v20, v0
.LBB6_23:
	s_or_b64 exec, exec, s[6:7]
	v_lshrrev_b64 v[0:1], 31, v[15:16]
	v_mov_b32_e32 v28, 0
	v_mov_b32_e32 v6, 0
	;; [unrolled: 1-line block ×3, first 2 shown]
	v_and_b32_e32 v2, 3, v0
	v_mov_b32_e32 v7, 0
	s_waitcnt lgkmcnt(0)
	v_ashrrev_i32_e32 v21, 31, v20
                                        ; implicit-def: $vgpr0_vgpr1
                                        ; kill: killed $vgpr0_vgpr1
                                        ; implicit-def: $vgpr57
                                        ; implicit-def: $vgpr38_vgpr39
                                        ; implicit-def: $vgpr0_vgpr1
                                        ; implicit-def: $vgpr32_vgpr33
	s_and_saveexec_b64 s[4:5], vcc
	s_cbranch_execz .LBB6_33
; %bb.24:
	s_trap 2
	ds_read_b64 v[0:1], v0
	v_lshlrev_b64 v[3:4], 3, v[20:21]
	s_movk_i32 s6, 0xa8
	s_waitcnt lgkmcnt(0)
	v_add_co_u32_e32 v0, vcc, v0, v3
	v_addc_co_u32_e32 v1, vcc, v1, v4, vcc
	flat_load_dwordx2 v[0:1], v[0:1]
	v_and_b32_e32 v3, 0xffff, v2
	s_waitcnt vmcnt(0) lgkmcnt(0)
	v_mad_u64_u32 v[22:23], s[6:7], v3, s6, v[0:1]
	flat_load_dword v0, v[22:23] offset:640
	s_waitcnt vmcnt(0) lgkmcnt(0)
	v_cmp_eq_u32_e32 vcc, 1, v0
                                        ; implicit-def: $vgpr0_vgpr1
                                        ; kill: killed $vgpr0_vgpr1
	s_and_saveexec_b64 s[6:7], vcc
	s_cbranch_execz .LBB6_26
; %bb.25:
	flat_load_dwordx2 v[3:4], v[22:23] offset:648
	v_or_b32_e32 v60, 0x2000, v60
	s_waitcnt vmcnt(0) lgkmcnt(0)
	flat_load_dwordx2 v[0:1], v[3:4]
	s_trap 2
	s_waitcnt vmcnt(0) lgkmcnt(0)
	ds_write_b64 v0, v[0:1]
	flat_load_dwordx2 v[0:1], v[3:4] offset:8
	s_waitcnt vmcnt(0) lgkmcnt(0)
	ds_write_b64 v0, v[0:1]
	buffer_store_dword v3, off, s[0:3], s33 offset:104 ; 4-byte Folded Spill
	s_nop 0
	buffer_store_dword v4, off, s[0:3], s33 offset:108 ; 4-byte Folded Spill
	flat_load_dwordx2 v[0:1], v[3:4] offset:16
	s_waitcnt vmcnt(0) lgkmcnt(0)
	ds_write_b64 v0, v[0:1]
.LBB6_26:
	s_or_b64 exec, exec, s[6:7]
	flat_load_dwordx2 v[8:9], v[22:23] offset:608
	v_and_b32_e32 v0, 32, v60
	v_cmp_ne_u32_e32 vcc, 0, v0
                                        ; implicit-def: $vgpr32_vgpr33
	s_and_saveexec_b64 s[6:7], vcc
	s_cbranch_execz .LBB6_28
; %bb.27:
	flat_load_dwordx2 v[32:33], v[22:23] offset:560
	s_waitcnt vmcnt(0) lgkmcnt(0)
	flat_store_dwordx2 v[32:33], v[8:9]
.LBB6_28:
	s_or_b64 exec, exec, s[6:7]
	v_add_co_u32_e32 v28, vcc, 0x1f8, v22
	v_addc_co_u32_e32 v29, vcc, 0, v23, vcc
	v_and_b32_e32 v0, 4, v60
	v_mov_b32_e32 v6, 0
	v_mov_b32_e32 v7, 0
	v_cmp_ne_u32_e32 vcc, 0, v0
                                        ; implicit-def: $vgpr57
                                        ; implicit-def: $vgpr38_vgpr39
                                        ; implicit-def: $vgpr0_vgpr1
	s_and_saveexec_b64 s[6:7], vcc
	s_cbranch_execz .LBB6_32
; %bb.29:
	v_and_b32_e32 v0, 0x800, v60
	v_cmp_eq_u32_e32 vcc, 0, v0
	s_and_saveexec_b64 s[10:11], vcc
	s_cbranch_execz .LBB6_31
; %bb.30:
	s_trap 2
	ds_write_b64 v0, v[28:29]
.LBB6_31:
	s_or_b64 exec, exec, s[10:11]
	flat_load_dwordx2 v[32:33], v[22:23] offset:552
	v_or_b32_e32 v4, 0x100, v60
	s_waitcnt vmcnt(0) lgkmcnt(0)
	flat_load_dwordx2 v[38:39], v[32:33] glc
	flat_load_dword v3, v[22:23] offset:576
	flat_load_dwordx2 v[6:7], v[22:23] offset:600
	flat_load_dwordx2 v[0:1], v[22:23] offset:520
	s_waitcnt vmcnt(0) lgkmcnt(0)
	v_ashrrev_i32_e32 v57, 1, v3
	v_cmp_eq_u64_e32 vcc, 0, v[6:7]
	v_cndmask_b32_e32 v60, v4, v60, vcc
.LBB6_32:
	s_or_b64 exec, exec, s[6:7]
.LBB6_33:
	s_or_b64 exec, exec, s[4:5]
	v_and_b32_e32 v3, 24, v60
	v_cmp_ne_u32_e32 vcc, 0, v3
                                        ; implicit-def: $vgpr3_vgpr4
                                        ; kill: killed $vgpr3_vgpr4
	s_and_saveexec_b64 s[4:5], vcc
	s_cbranch_execz .LBB6_41
; %bb.34:
	s_trap 2
	ds_read_b64 v[3:4], v0
	v_lshlrev_b64 v[5:6], 3, v[20:21]
	v_and_b32_e32 v2, 0xffff, v2
	s_movk_i32 s6, 0xa8
	s_waitcnt lgkmcnt(0)
	v_add_co_u32_e32 v3, vcc, v3, v5
	v_addc_co_u32_e32 v4, vcc, v4, v6, vcc
	flat_load_dwordx2 v[3:4], v[3:4]
	s_waitcnt vmcnt(0) lgkmcnt(0)
	v_mad_u64_u32 v[28:29], s[6:7], v2, s6, v[3:4]
	v_or_b32_e32 v2, 0x100, v60
	flat_load_dwordx4 v[6:9], v[28:29] offset:96
	s_waitcnt vmcnt(0) lgkmcnt(0)
	v_cmp_eq_u64_e32 vcc, 0, v[6:7]
	v_cndmask_b32_e32 v60, v2, v60, vcc
	v_and_b32_e32 v2, 16, v60
	v_cmp_ne_u32_e32 vcc, 0, v2
                                        ; implicit-def: $vgpr2_vgpr3
                                        ; kill: killed $vgpr2_vgpr3
	s_and_saveexec_b64 s[6:7], vcc
	s_cbranch_execz .LBB6_36
; %bb.35:
	flat_load_dwordx2 v[32:33], v[28:29] offset:48
	flat_load_dwordx2 v[0:1], v[28:29] offset:120
	s_waitcnt vmcnt(0) lgkmcnt(0)
	buffer_store_dword v0, off, s[0:3], s33 offset:68 ; 4-byte Folded Spill
	s_nop 0
	buffer_store_dword v1, off, s[0:3], s33 offset:72 ; 4-byte Folded Spill
	flat_load_dwordx2 v[0:1], v[28:29] offset:16
.LBB6_36:
	s_or_b64 exec, exec, s[6:7]
	v_and_b32_e32 v2, 8, v60
	v_cmp_ne_u32_e32 vcc, 0, v2
	s_and_saveexec_b64 s[6:7], vcc
	s_cbranch_execz .LBB6_40
; %bb.37:
	s_waitcnt vmcnt(0) lgkmcnt(0)
	v_and_b32_e32 v0, 0x800, v60
	v_cmp_eq_u32_e32 vcc, 0, v0
	s_and_saveexec_b64 s[10:11], vcc
	s_cbranch_execz .LBB6_39
; %bb.38:
	s_trap 2
	ds_write_b64 v0, v[28:29]
.LBB6_39:
	s_or_b64 exec, exec, s[10:11]
	flat_load_dwordx2 v[32:33], v[28:29] offset:56
	s_waitcnt vmcnt(0) lgkmcnt(0)
	flat_load_dwordx2 v[38:39], v[32:33] glc
	flat_load_dword v2, v[28:29] offset:72
	flat_load_dwordx2 v[0:1], v[28:29] offset:16
	s_waitcnt vmcnt(0) lgkmcnt(0)
	v_ashrrev_i32_e32 v57, 1, v2
.LBB6_40:
	s_or_b64 exec, exec, s[6:7]
.LBB6_41:
	s_or_b64 exec, exec, s[4:5]
	v_cmp_eq_u32_e64 s[4:5], 0, v49
	s_and_saveexec_b64 s[6:7], s[4:5]
	s_cbranch_execz .LBB6_43
; %bb.42:
	s_waitcnt vmcnt(0)
	v_mov_b32_e32 v2, v12
	v_mov_b32_e32 v3, v13
	v_mov_b32_e32 v4, v10
	v_mov_b32_e32 v5, v11
	s_waitcnt lgkmcnt(0)
	ds_write2_b64 v0, v[2:3], v[4:5] offset1:1
	v_mov_b32_e32 v2, 0
	v_mov_b32_e32 v3, v2
	s_trap 2
	ds_write_b64 v0, v[2:3]
	ds_write_b64 v0, v[18:19]
.LBB6_43:
	s_or_b64 exec, exec, s[6:7]
	s_ashr_i32 s6, s12, 31
	s_lshr_b32 s6, s6, 29
	s_add_i32 s12, s12, s6
	v_bfe_u32 v2, v15, 1, 30
	v_and_b32_e32 v4, 0x1fffff00, v17
	v_mov_b32_e32 v5, 0
	s_ashr_i32 s30, s12, 4
	v_cmp_ne_u32_e32 vcc, v25, v2
                                        ; implicit-def: $vgpr26_vgpr27
	s_and_saveexec_b64 s[6:7], vcc
	s_xor_b64 s[24:25], exec, s[6:7]
	s_cbranch_execz .LBB6_665
; %bb.44:
	v_cmp_ne_u32_e32 vcc, v14, v2
                                        ; implicit-def: $vgpr26_vgpr27
	s_and_saveexec_b64 s[6:7], vcc
	s_xor_b64 s[26:27], exec, s[6:7]
	s_cbranch_execz .LBB6_360
; %bb.45:
	v_mov_b32_e32 v26, 0
	v_cmp_ne_u64_e32 vcc, 0, v[34:35]
	v_mov_b32_e32 v27, 0
	s_and_saveexec_b64 s[28:29], vcc
	s_cbranch_execz .LBB6_359
; %bb.46:
	v_and_b32_e32 v2, 63, v31
	v_cmp_eq_u32_e64 s[12:13], 0, v2
	v_ashrrev_i32_e32 v2, 31, v49
	v_lshrrev_b32_e32 v2, 26, v2
	v_add_u32_e32 v2, v49, v2
	v_and_b32_e32 v3, 0xffffffc0, v2
	v_ashrrev_i32_e32 v36, 6, v2
	v_sub_u32_e32 v3, v49, v3
	v_lshlrev_b32_e32 v2, 11, v36
	v_lshl_add_u32 v2, v3, 4, v2
	buffer_store_dword v28, off, s[0:3], s33 offset:96 ; 4-byte Folded Spill
	s_nop 0
	buffer_store_dword v29, off, s[0:3], s33 offset:100 ; 4-byte Folded Spill
	s_trap 2
	buffer_store_dword v2, off, s[0:3], s33 offset:124 ; 4-byte Folded Spill
	v_ashrrev_i32_e32 v2, 31, v2
	s_waitcnt vmcnt(0)
	buffer_store_dword v61, off, s[0:3], s33 offset:92 ; 4-byte Folded Spill
	buffer_store_dword v31, off, s[0:3], s33 offset:112 ; 4-byte Folded Spill
	;; [unrolled: 1-line block ×5, first 2 shown]
	buffer_load_dword v10, off, s[0:3], s33 offset:68 ; 4-byte Folded Reload
	buffer_load_dword v11, off, s[0:3], s33 offset:72 ; 4-byte Folded Reload
	s_lshr_b32 s6, s30, 27
	s_add_i32 s6, s30, s6
	v_ashrrev_i32_e32 v21, 31, v57
	v_cmp_eq_u32_e32 vcc, 64, v47
	v_lshrrev_b32_e32 v62, 6, v47
	v_cmp_le_i32_e64 s[14:15], v3, v24
	v_cmp_lt_i32_e64 s[16:17], v3, v24
	v_lshlrev_b32_e32 v3, 1, v47
	v_mov_b32_e32 v54, 0
	v_mov_b32_e32 v26, 0
	s_ashr_i32 s31, s6, 5
	v_cmp_ge_i32_e64 s[6:7], v49, v47
	v_cmp_ne_u32_e64 s[10:11], 64, v47
	v_cmp_ne_u32_sdwa s[40:41], v47, v61 src0_sel:DWORD src1_sel:WORD_0
	v_mov_b32_e32 v52, 0
	v_lshlrev_b32_e32 v30, 11, v62
	v_lshlrev_b32_e32 v2, 10, v62
	v_and_b32_e32 v47, 0x7f80, v3
	s_mov_b64 s[42:43], 0
	v_mov_b32_e32 v55, 0
	v_mov_b32_e32 v27, 0
	s_movk_i32 s34, 0x108
	s_xor_b64 s[44:45], vcc, -1
	s_mov_b32 s35, 0x7f800000
	s_movk_i32 s36, 0x7fff
	s_mov_b32 s37, 0xffff0000
	v_mov_b32_e32 v48, v57
	v_mov_b32_e32 v37, v21
	buffer_store_dword v34, off, s[0:3], s33 offset:76 ; 4-byte Folded Spill
	s_nop 0
	buffer_store_dword v35, off, s[0:3], s33 offset:80 ; 4-byte Folded Spill
	buffer_store_dword v36, off, s[0:3], s33 offset:84 ; 4-byte Folded Spill
	;; [unrolled: 1-line block ×3, first 2 shown]
	s_waitcnt vmcnt(0)
	v_cmp_eq_u64_e64 s[18:19], 0, v[10:11]
	s_branch .LBB6_49
.LBB6_47:                               ;   in Loop: Header=BB6_49 Depth=1
	s_or_b64 exec, exec, s[20:21]
.LBB6_48:                               ;   in Loop: Header=BB6_49 Depth=1
	s_or_b64 exec, exec, s[56:57]
	v_add_co_u32_e32 v54, vcc, v54, v4
	v_addc_co_u32_e32 v55, vcc, 0, v55, vcc
	v_cmp_ge_u64_e32 vcc, v[54:55], v[34:35]
	s_or_b64 s[42:43], vcc, s[42:43]
	s_andn2_b64 exec, exec, s[42:43]
	s_cbranch_execz .LBB6_358
.LBB6_49:                               ; =>This Loop Header: Depth=1
                                        ;     Child Loop BB6_58 Depth 2
                                        ;     Child Loop BB6_86 Depth 2
	;; [unrolled: 1-line block ×10, first 2 shown]
	v_sub_co_u32_e32 v10, vcc, v34, v54
	v_subb_co_u32_e32 v11, vcc, v35, v55, vcc
	v_cmp_lt_u64_e32 vcc, v[4:5], v[10:11]
	v_cndmask_b32_e64 v41, v11, 0, vcc
	v_cndmask_b32_e32 v40, v10, v4, vcc
	v_cmp_eq_u64_e32 vcc, 0, v[40:41]
	v_add_u32_e32 v3, 15, v40
	v_and_b32_e32 v3, 0x3ffffff0, v3
	s_or_b64 s[46:47], s[6:7], vcc
	v_max_i32_e32 v31, s31, v3
	s_xor_b64 s[20:21], s[46:47], -1
	v_mov_b32_e32 v3, 0
	s_and_saveexec_b64 s[56:57], s[20:21]
	s_cbranch_execz .LBB6_306
; %bb.50:                               ;   in Loop: Header=BB6_49 Depth=1
	s_and_saveexec_b64 s[20:21], s[4:5]
	s_cbranch_execz .LBB6_52
; %bb.51:                               ;   in Loop: Header=BB6_49 Depth=1
	s_trap 2
	s_waitcnt lgkmcnt(0)
	ds_read_b64 v[10:11], v0
	buffer_load_dword v12, off, s[0:3], s33 offset:60 ; 4-byte Folded Reload
	buffer_load_dword v13, off, s[0:3], s33 offset:64 ; 4-byte Folded Reload
	v_mov_b32_e32 v53, v52
	ds_write_b64 v0, v[52:53]
	s_waitcnt vmcnt(0)
	v_lshlrev_b64 v[12:13], 1, v[12:13]
	s_waitcnt lgkmcnt(1)
	v_add_co_u32_e32 v3, vcc, v10, v12
	v_addc_co_u32_e32 v12, vcc, v11, v13, vcc
	v_lshlrev_b64 v[10:11], 1, v[54:55]
	v_add_co_u32_e32 v10, vcc, v3, v10
	v_addc_co_u32_e32 v11, vcc, v12, v11, vcc
	ds_write_b64 v0, v[10:11]
.LBB6_52:                               ;   in Loop: Header=BB6_49 Depth=1
	s_or_b64 exec, exec, s[20:21]
	v_and_b32_e32 v3, 12, v60
	v_min_u32_e32 v31, v31, v40
	v_cmp_ne_u32_e32 vcc, 0, v3
	s_and_saveexec_b64 s[58:59], vcc
	s_cbranch_execz .LBB6_78
; %bb.53:                               ;   in Loop: Header=BB6_49 Depth=1
	v_and_b32_e32 v3, 8, v60
	s_waitcnt vmcnt(0)
	v_add_co_u32_e32 v12, vcc, v38, v3
	v_addc_co_u32_e32 v13, vcc, 0, v39, vcc
	s_waitcnt lgkmcnt(0)
	v_add_co_u32_e32 v10, vcc, 1, v8
	v_addc_co_u32_e32 v11, vcc, 0, v9, vcc
	v_cmp_lt_u64_e32 vcc, v[12:13], v[10:11]
	s_and_saveexec_b64 s[60:61], vcc
	s_cbranch_execz .LBB6_65
; %bb.54:                               ;   in Loop: Header=BB6_49 Depth=1
	v_and_b32_e32 v9, 64, v60
	s_mov_b32 s38, 0
	v_cmp_eq_u32_e32 vcc, 0, v9
	s_mov_b64 s[62:63], 0
                                        ; implicit-def: $sgpr72_sgpr73
                                        ; implicit-def: $sgpr74_sgpr75
                                        ; implicit-def: $sgpr76_sgpr77
	s_branch .LBB6_58
.LBB6_55:                               ;   in Loop: Header=BB6_58 Depth=2
	s_waitcnt vmcnt(0) lgkmcnt(0)
	v_add_co_u32_e64 v12, s[20:21], v38, v3
	v_addc_co_u32_e64 v13, s[20:21], 0, v39, s[20:21]
	v_cmp_ge_u64_e64 s[20:21], v[12:13], v[10:11]
	s_or_b64 s[90:91], s[90:91], exec
	s_orn2_b64 s[88:89], s[20:21], exec
.LBB6_56:                               ;   in Loop: Header=BB6_58 Depth=2
	s_or_b64 exec, exec, s[94:95]
	s_andn2_b64 s[20:21], s[76:77], exec
	s_and_b64 s[76:77], s[90:91], exec
	s_or_b64 s[76:77], s[20:21], s[76:77]
	s_andn2_b64 s[20:21], s[74:75], exec
	s_and_b64 s[74:75], s[88:89], exec
	s_or_b64 s[74:75], s[20:21], s[74:75]
.LBB6_57:                               ;   in Loop: Header=BB6_58 Depth=2
	s_or_b64 exec, exec, s[78:79]
	s_and_b64 s[20:21], exec, s[74:75]
	s_or_b64 s[62:63], s[20:21], s[62:63]
	s_andn2_b64 s[20:21], s[72:73], exec
	s_and_b64 s[72:73], s[76:77], exec
	s_or_b64 s[72:73], s[20:21], s[72:73]
	s_andn2_b64 exec, exec, s[62:63]
	s_cbranch_execz .LBB6_62
.LBB6_58:                               ;   Parent Loop BB6_49 Depth=1
                                        ; =>  This Inner Loop Header: Depth=2
	s_sleep 1
	s_waitcnt vmcnt(0) lgkmcnt(0)
	flat_load_dwordx2 v[38:39], v[32:33] glc
	s_or_b64 s[76:77], s[76:77], exec
	s_or_b64 s[74:75], s[74:75], exec
                                        ; implicit-def: $vgpr9
	s_and_saveexec_b64 s[78:79], vcc
	s_cbranch_execz .LBB6_57
; %bb.59:                               ;   in Loop: Header=BB6_58 Depth=2
	s_cmpk_lt_i32 s38, 0x270f
	s_cselect_b64 s[92:93], -1, 0
	s_cmpk_gt_i32 s38, 0x270e
	s_mov_b64 s[88:89], -1
	s_cbranch_scc0 .LBB6_61
; %bb.60:                               ;   in Loop: Header=BB6_58 Depth=2
	s_trap 2
	ds_read_b64 v[12:13], v0
	s_andn2_b64 s[92:93], s[92:93], exec
	s_mov_b32 s38, 0
	s_mov_b64 s[90:91], 0
	s_waitcnt vmcnt(0) lgkmcnt(0)
	flat_load_dword v9, v[12:13] glc
	s_waitcnt vmcnt(0) lgkmcnt(0)
	buffer_wbinvl1_vol
	v_cmp_eq_u32_e64 s[20:21], 0, v9
	s_and_b64 s[20:21], s[20:21], exec
	s_or_b64 s[92:93], s[92:93], s[20:21]
	s_and_saveexec_b64 s[94:95], s[92:93]
	s_cbranch_execz .LBB6_56
	s_branch .LBB6_55
.LBB6_61:                               ;   in Loop: Header=BB6_58 Depth=2
	s_add_i32 s38, s38, 1
	s_mov_b64 s[90:91], -1
                                        ; implicit-def: $vgpr9
	s_and_saveexec_b64 s[94:95], s[92:93]
	s_cbranch_execz .LBB6_56
	s_branch .LBB6_55
.LBB6_62:                               ;   in Loop: Header=BB6_49 Depth=1
	s_or_b64 exec, exec, s[62:63]
	s_xor_b64 s[20:21], s[72:73], -1
	s_and_saveexec_b64 s[62:63], s[20:21]
	s_xor_b64 s[20:21], exec, s[62:63]
	s_cbranch_execz .LBB6_64
; %bb.63:                               ;   in Loop: Header=BB6_49 Depth=1
	v_or_b32_e32 v60, 64, v60
	s_waitcnt lgkmcnt(0)
	ds_write_b32 v0, v9
	s_trap 2
.LBB6_64:                               ;   in Loop: Header=BB6_49 Depth=1
	s_or_b64 exec, exec, s[20:21]
.LBB6_65:                               ;   in Loop: Header=BB6_49 Depth=1
	s_or_b64 exec, exec, s[60:61]
	v_and_b32_e32 v9, 0x108, v60
	v_cmp_ne_u32_e32 vcc, s34, v9
	v_and_b32_e32 v14, 7, v8
	;;#ASMSTART
	s_wakeup
	;;#ASMEND
	s_and_saveexec_b64 s[20:21], vcc
	s_xor_b64 s[20:21], exec, s[20:21]
                                        ; implicit-def: $vgpr15
; %bb.66:                               ;   in Loop: Header=BB6_49 Depth=1
	v_mov_b32_e32 v15, v52
; %bb.67:                               ;   in Loop: Header=BB6_49 Depth=1
	s_andn2_saveexec_b64 s[20:21], s[20:21]
	s_cbranch_execz .LBB6_69
; %bb.68:                               ;   in Loop: Header=BB6_49 Depth=1
	v_mad_u64_u32 v[8:9], s[60:61], v14, 24, v[6:7]
	v_mov_b32_e32 v15, v52
	v_lshlrev_b32_e32 v12, 1, v31
	v_mov_b32_e32 v13, v52
	flat_store_dwordx2 v[8:9], v[12:13] offset:8
.LBB6_69:                               ;   in Loop: Header=BB6_49 Depth=1
	s_or_b64 exec, exec, s[20:21]
	v_and_b32_e32 v8, 0x100, v60
	v_cmp_ne_u32_e32 vcc, 0, v8
	s_mov_b64 s[20:21], -1
                                        ; implicit-def: $vgpr8_vgpr9
	s_and_saveexec_b64 s[60:61], vcc
	s_cbranch_execz .LBB6_73
; %bb.70:                               ;   in Loop: Header=BB6_49 Depth=1
	v_mad_u64_u32 v[12:13], s[20:21], v14, 24, v[6:7]
	v_mov_b32_e32 v8, v13
	v_mad_u64_u32 v[8:9], s[20:21], v15, 24, v[8:9]
	v_mov_b32_e32 v13, v8
	flat_load_dword v8, v[12:13]
	s_waitcnt vmcnt(0) lgkmcnt(0)
	v_cmp_ne_u32_e32 vcc, 1, v8
	v_cmp_eq_u32_e64 s[20:21], 1, v8
                                        ; implicit-def: $vgpr8_vgpr9
	s_and_saveexec_b64 s[62:63], s[20:21]
	s_cbranch_execz .LBB6_72
; %bb.71:                               ;   in Loop: Header=BB6_49 Depth=1
	flat_load_dword v8, v[12:13] offset:4 glc
	s_waitcnt vmcnt(0) lgkmcnt(0)
	v_ashrrev_i32_e32 v9, 31, v8
	v_lshrrev_b64 v[8:9], 1, v[8:9]
.LBB6_72:                               ;   in Loop: Header=BB6_49 Depth=1
	s_or_b64 exec, exec, s[62:63]
	s_orn2_b64 s[20:21], vcc, exec
.LBB6_73:                               ;   in Loop: Header=BB6_49 Depth=1
	s_or_b64 exec, exec, s[60:61]
	s_and_saveexec_b64 s[60:61], s[20:21]
	s_cbranch_execz .LBB6_75
; %bb.74:                               ;   in Loop: Header=BB6_49 Depth=1
	v_mul_lo_u32 v12, v15, v57
	v_mul_lo_u32 v13, v14, v21
	v_mad_u64_u32 v[8:9], s[20:21], v14, v57, 0
	v_add3_u32 v9, v9, v13, v12
.LBB6_75:                               ;   in Loop: Header=BB6_49 Depth=1
	s_or_b64 exec, exec, s[60:61]
	v_lshlrev_b64 v[8:9], 1, v[8:9]
	v_cmp_eq_u32_e32 vcc, 0, v3
	v_mov_b32_e32 v3, 0xc8
	v_mov_b32_e32 v12, 0x90
	v_cndmask_b32_e32 v3, v3, v12, vcc
	v_add_co_u32_e32 v8, vcc, v0, v8
	v_addc_co_u32_e32 v9, vcc, v1, v9, vcc
	v_add_u32_e32 v3, v0, v3
	ds_write_b64 v3, v[8:9] offset:584
	v_and_b32_e32 v3, 0x2000, v60
	v_cmp_ne_u32_e32 vcc, 0, v3
	s_and_saveexec_b64 s[20:21], vcc
	s_cbranch_execz .LBB6_77
; %bb.76:                               ;   in Loop: Header=BB6_49 Depth=1
	ds_read_b64 v[8:9], v0 offset:872
	s_waitcnt lgkmcnt(0)
	v_add_co_u32_e32 v8, vcc, 1, v8
	v_addc_co_u32_e32 v9, vcc, 0, v9, vcc
	ds_write_b64 v0, v[8:9] offset:872
.LBB6_77:                               ;   in Loop: Header=BB6_49 Depth=1
	s_or_b64 exec, exec, s[20:21]
	v_mov_b32_e32 v8, v10
	v_mov_b32_e32 v9, v11
.LBB6_78:                               ;   in Loop: Header=BB6_49 Depth=1
	s_or_b64 exec, exec, s[58:59]
	s_and_saveexec_b64 s[20:21], s[10:11]
	s_cbranch_execz .LBB6_97
; %bb.79:                               ;   in Loop: Header=BB6_49 Depth=1
	s_and_saveexec_b64 s[58:59], s[40:41]
	s_xor_b64 s[58:59], exec, s[58:59]
	s_cbranch_execz .LBB6_94
; %bb.80:                               ;   in Loop: Header=BB6_49 Depth=1
	s_and_saveexec_b64 s[60:61], s[12:13]
	s_cbranch_execz .LBB6_93
; %bb.81:                               ;   in Loop: Header=BB6_49 Depth=1
	s_mov_b64 s[72:73], exec
	v_mbcnt_lo_u32_b32 v3, s72, 0
	v_mbcnt_hi_u32_b32 v3, s73, v3
	v_cmp_eq_u32_e32 vcc, 0, v3
	s_waitcnt vmcnt(0) lgkmcnt(0)
	buffer_wbinvl1_vol
	s_and_saveexec_b64 s[62:63], vcc
	s_cbranch_execz .LBB6_83
; %bb.82:                               ;   in Loop: Header=BB6_49 Depth=1
	s_bcnt1_i32_b64 s72, s[72:73]
	v_mov_b32_e32 v10, s72
	v_mov_b32_e32 v11, v52
	ds_add_u64 v0, v[10:11]
	s_trap 2
.LBB6_83:                               ;   in Loop: Header=BB6_49 Depth=1
	s_or_b64 exec, exec, s[62:63]
	s_trap 2
	ds_read_b64 v[10:11], v0
	s_waitcnt lgkmcnt(0)
	v_add_co_u32_e32 v26, vcc, v26, v62
	v_addc_co_u32_e32 v27, vcc, 0, v27, vcc
	v_cmp_lt_u64_e32 vcc, v[10:11], v[26:27]
	s_and_saveexec_b64 s[62:63], vcc
	s_cbranch_execz .LBB6_92
; %bb.84:                               ;   in Loop: Header=BB6_49 Depth=1
	s_mov_b32 s92, 0
	s_mov_b64 s[72:73], 0
                                        ; implicit-def: $sgpr74_sgpr75
                                        ; implicit-def: $sgpr76_sgpr77
	s_branch .LBB6_86
.LBB6_85:                               ;   in Loop: Header=BB6_86 Depth=2
	s_or_b64 exec, exec, s[88:89]
	s_and_b64 s[78:79], exec, s[90:91]
	s_or_b64 s[72:73], s[78:79], s[72:73]
	s_andn2_b64 s[74:75], s[74:75], exec
	s_and_b64 s[78:79], s[76:77], exec
	s_or_b64 s[74:75], s[74:75], s[78:79]
	s_andn2_b64 exec, exec, s[72:73]
	s_cbranch_execz .LBB6_90
.LBB6_86:                               ;   Parent Loop BB6_49 Depth=1
                                        ; =>  This Inner Loop Header: Depth=2
	s_add_i32 s92, s92, 1
	s_cmpk_lg_i32 s92, 0x2710
	s_cselect_b64 s[78:79], -1, 0
	s_and_b64 vcc, exec, s[78:79]
	s_cbranch_vccz .LBB6_88
; %bb.87:                               ;   in Loop: Header=BB6_86 Depth=2
	s_mov_b64 s[90:91], -1
	s_or_b64 s[76:77], s[76:77], exec
	s_and_saveexec_b64 s[88:89], s[78:79]
	s_cbranch_execz .LBB6_85
	s_branch .LBB6_89
.LBB6_88:                               ;   in Loop: Header=BB6_86 Depth=2
	s_trap 2
	ds_read_b64 v[10:11], v0
	s_andn2_b64 s[78:79], s[78:79], exec
	s_mov_b32 s92, 0
	s_waitcnt lgkmcnt(0)
	flat_load_dword v3, v[10:11] glc
	s_waitcnt vmcnt(0) lgkmcnt(0)
	buffer_wbinvl1_vol
	v_cmp_eq_u32_e32 vcc, 0, v3
	s_and_b64 s[88:89], vcc, exec
	s_or_b64 s[78:79], s[78:79], s[88:89]
	s_mov_b64 s[90:91], -1
	s_or_b64 s[76:77], s[76:77], exec
	s_and_saveexec_b64 s[88:89], s[78:79]
	s_cbranch_execz .LBB6_85
.LBB6_89:                               ;   in Loop: Header=BB6_86 Depth=2
	s_sleep 1
	s_trap 2
	ds_read_b64 v[10:11], v0
	s_waitcnt lgkmcnt(0)
	s_andn2_b64 s[76:77], s[76:77], exec
	v_cmp_ge_u64_e32 vcc, v[10:11], v[26:27]
	s_orn2_b64 s[90:91], vcc, exec
	s_branch .LBB6_85
.LBB6_90:                               ;   in Loop: Header=BB6_49 Depth=1
	s_or_b64 exec, exec, s[72:73]
	s_and_saveexec_b64 s[72:73], s[74:75]
	s_xor_b64 s[72:73], exec, s[72:73]
	s_cbranch_execz .LBB6_92
; %bb.91:                               ;   in Loop: Header=BB6_49 Depth=1
	v_mov_b32_e32 v3, 1
	ds_write_b32 v0, v3
	s_trap 2
.LBB6_92:                               ;   in Loop: Header=BB6_49 Depth=1
	s_or_b64 exec, exec, s[62:63]
	;;#ASMSTART
	s_wakeup
	;;#ASMEND
.LBB6_93:                               ;   in Loop: Header=BB6_49 Depth=1
	s_or_b64 exec, exec, s[60:61]
.LBB6_94:                               ;   in Loop: Header=BB6_49 Depth=1
	s_andn2_saveexec_b64 s[58:59], s[58:59]
	s_cbranch_execz .LBB6_96
; %bb.95:                               ;   in Loop: Header=BB6_49 Depth=1
	s_waitcnt vmcnt(0) lgkmcnt(0)
	buffer_wbinvl1_vol
	s_barrier
.LBB6_96:                               ;   in Loop: Header=BB6_49 Depth=1
	s_or_b64 exec, exec, s[58:59]
.LBB6_97:                               ;   in Loop: Header=BB6_49 Depth=1
	s_or_b64 exec, exec, s[20:21]
	s_trap 2
	s_waitcnt lgkmcnt(0)
	ds_read_b32 v3, v0
	v_and_b32_e32 v10, 0x4000, v60
	v_cmp_ne_u32_e32 vcc, 0, v10
	s_and_b64 s[58:59], s[44:45], vcc
	s_and_saveexec_b64 s[20:21], s[58:59]
	s_cbranch_execz .LBB6_116
; %bb.98:                               ;   in Loop: Header=BB6_49 Depth=1
	s_and_saveexec_b64 s[58:59], s[40:41]
	s_xor_b64 s[58:59], exec, s[58:59]
	s_cbranch_execz .LBB6_113
; %bb.99:                               ;   in Loop: Header=BB6_49 Depth=1
	s_and_saveexec_b64 s[60:61], s[12:13]
	s_cbranch_execz .LBB6_112
; %bb.100:                              ;   in Loop: Header=BB6_49 Depth=1
	s_mov_b64 s[72:73], exec
	v_mbcnt_lo_u32_b32 v10, s72, 0
	v_mbcnt_hi_u32_b32 v10, s73, v10
	v_cmp_eq_u32_e32 vcc, 0, v10
	s_waitcnt vmcnt(0) lgkmcnt(0)
	buffer_wbinvl1_vol
	s_and_saveexec_b64 s[62:63], vcc
	s_cbranch_execz .LBB6_102
; %bb.101:                              ;   in Loop: Header=BB6_49 Depth=1
	s_bcnt1_i32_b64 s72, s[72:73]
	v_mov_b32_e32 v10, s72
	v_mov_b32_e32 v11, v52
	ds_add_u64 v0, v[10:11]
	s_trap 2
.LBB6_102:                              ;   in Loop: Header=BB6_49 Depth=1
	s_or_b64 exec, exec, s[62:63]
	s_trap 2
	ds_read_b64 v[10:11], v0
	s_waitcnt lgkmcnt(0)
	v_add_co_u32_e32 v26, vcc, v26, v62
	v_addc_co_u32_e32 v27, vcc, 0, v27, vcc
	v_cmp_lt_u64_e32 vcc, v[10:11], v[26:27]
	s_and_saveexec_b64 s[62:63], vcc
	s_cbranch_execz .LBB6_111
; %bb.103:                              ;   in Loop: Header=BB6_49 Depth=1
	s_mov_b32 s92, 0
	s_mov_b64 s[72:73], 0
                                        ; implicit-def: $sgpr74_sgpr75
                                        ; implicit-def: $sgpr76_sgpr77
	s_branch .LBB6_105
.LBB6_104:                              ;   in Loop: Header=BB6_105 Depth=2
	s_or_b64 exec, exec, s[88:89]
	s_and_b64 s[78:79], exec, s[90:91]
	s_or_b64 s[72:73], s[78:79], s[72:73]
	s_andn2_b64 s[74:75], s[74:75], exec
	s_and_b64 s[78:79], s[76:77], exec
	s_or_b64 s[74:75], s[74:75], s[78:79]
	s_andn2_b64 exec, exec, s[72:73]
	s_cbranch_execz .LBB6_109
.LBB6_105:                              ;   Parent Loop BB6_49 Depth=1
                                        ; =>  This Inner Loop Header: Depth=2
	s_add_i32 s92, s92, 1
	s_cmpk_lg_i32 s92, 0x2710
	s_cselect_b64 s[78:79], -1, 0
	s_and_b64 vcc, exec, s[78:79]
	s_cbranch_vccz .LBB6_107
; %bb.106:                              ;   in Loop: Header=BB6_105 Depth=2
	s_mov_b64 s[90:91], -1
	s_or_b64 s[76:77], s[76:77], exec
	s_and_saveexec_b64 s[88:89], s[78:79]
	s_cbranch_execz .LBB6_104
	s_branch .LBB6_108
.LBB6_107:                              ;   in Loop: Header=BB6_105 Depth=2
	s_trap 2
	ds_read_b64 v[10:11], v0
	s_andn2_b64 s[78:79], s[78:79], exec
	s_mov_b32 s92, 0
	s_waitcnt lgkmcnt(0)
	flat_load_dword v10, v[10:11] glc
	s_waitcnt vmcnt(0) lgkmcnt(0)
	buffer_wbinvl1_vol
	v_cmp_eq_u32_e32 vcc, 0, v10
	s_and_b64 s[88:89], vcc, exec
	s_or_b64 s[78:79], s[78:79], s[88:89]
	s_mov_b64 s[90:91], -1
	s_or_b64 s[76:77], s[76:77], exec
	s_and_saveexec_b64 s[88:89], s[78:79]
	s_cbranch_execz .LBB6_104
.LBB6_108:                              ;   in Loop: Header=BB6_105 Depth=2
	s_sleep 1
	s_trap 2
	ds_read_b64 v[10:11], v0
	s_waitcnt lgkmcnt(0)
	s_andn2_b64 s[76:77], s[76:77], exec
	v_cmp_ge_u64_e32 vcc, v[10:11], v[26:27]
	s_orn2_b64 s[90:91], vcc, exec
	s_branch .LBB6_104
.LBB6_109:                              ;   in Loop: Header=BB6_49 Depth=1
	s_or_b64 exec, exec, s[72:73]
	s_and_saveexec_b64 s[72:73], s[74:75]
	s_xor_b64 s[72:73], exec, s[72:73]
	s_cbranch_execz .LBB6_111
; %bb.110:                              ;   in Loop: Header=BB6_49 Depth=1
	v_mov_b32_e32 v10, 1
	ds_write_b32 v0, v10
	s_trap 2
.LBB6_111:                              ;   in Loop: Header=BB6_49 Depth=1
	s_or_b64 exec, exec, s[62:63]
	;;#ASMSTART
	s_wakeup
	;;#ASMEND
.LBB6_112:                              ;   in Loop: Header=BB6_49 Depth=1
	s_or_b64 exec, exec, s[60:61]
.LBB6_113:                              ;   in Loop: Header=BB6_49 Depth=1
	s_andn2_saveexec_b64 s[58:59], s[58:59]
	s_cbranch_execz .LBB6_115
; %bb.114:                              ;   in Loop: Header=BB6_49 Depth=1
	s_waitcnt vmcnt(0) lgkmcnt(0)
	buffer_wbinvl1_vol
	s_barrier
.LBB6_115:                              ;   in Loop: Header=BB6_49 Depth=1
	s_or_b64 exec, exec, s[58:59]
.LBB6_116:                              ;   in Loop: Header=BB6_49 Depth=1
	s_or_b64 exec, exec, s[20:21]
	s_trap 2
	ds_read_b64 v[41:42], v0
	s_waitcnt lgkmcnt(0)
	v_cmp_eq_u64_e32 vcc, 0, v[41:42]
	s_cbranch_vccnz .LBB6_124
; %bb.117:                              ;   in Loop: Header=BB6_49 Depth=1
	s_trap 2
	ds_read_b64 v[43:44], v0
	s_waitcnt lgkmcnt(0)
	v_cmp_eq_u64_e32 vcc, 0, v[43:44]
	s_cbranch_vccnz .LBB6_125
; %bb.118:                              ;   in Loop: Header=BB6_49 Depth=1
	s_mov_b64 s[20:21], -1
	s_and_saveexec_b64 s[58:59], s[14:15]
	s_cbranch_execz .LBB6_120
; %bb.119:                              ;   in Loop: Header=BB6_49 Depth=1
	ds_read_b32 v10, v0 offset:720
	s_waitcnt lgkmcnt(0)
	v_and_b32_e32 v10, 15, v10
	v_cmp_eq_u32_e32 vcc, 0, v10
	s_orn2_b64 s[20:21], vcc, exec
.LBB6_120:                              ;   in Loop: Header=BB6_49 Depth=1
	s_or_b64 exec, exec, s[58:59]
	s_and_saveexec_b64 s[58:59], s[16:17]
	s_cbranch_execz .LBB6_122
; %bb.121:                              ;   in Loop: Header=BB6_49 Depth=1
	ds_read_b32 v10, v0 offset:784
	s_waitcnt lgkmcnt(0)
	v_and_b32_e32 v10, 15, v10
	v_cmp_eq_u32_e32 vcc, 0, v10
	s_and_b64 s[60:61], s[20:21], vcc
	s_andn2_b64 s[20:21], s[20:21], exec
	s_and_b64 s[60:61], s[60:61], exec
	s_or_b64 s[20:21], s[20:21], s[60:61]
.LBB6_122:                              ;   in Loop: Header=BB6_49 Depth=1
	s_or_b64 exec, exec, s[58:59]
	v_cmp_eq_u32_e32 vcc, 0, v3
	s_xor_b64 s[20:21], s[20:21], -1
	v_cndmask_b32_e32 v53, 0, v31, vcc
	v_cndmask_b32_e64 v10, 0, 1, s[20:21]
	v_lshlrev_b32_e32 v3, 1, v53
	s_mov_b64 s[60:61], -1
	v_cmp_ne_u32_e32 vcc, 0, v10
	v_mov_b32_e32 v16, 0
	s_cbranch_vccz .LBB6_126
; %bb.123:                              ;   in Loop: Header=BB6_49 Depth=1
	v_mov_b32_e32 v17, v49
	v_mov_b32_e32 v10, v36
	s_and_saveexec_b64 s[20:21], s[60:61]
	s_cbranch_execnz .LBB6_235
	s_branch .LBB6_279
.LBB6_124:                              ;   in Loop: Header=BB6_49 Depth=1
	s_mov_b64 s[20:21], 0
	s_and_saveexec_b64 s[58:59], s[10:11]
	s_cbranch_execnz .LBB6_281
	s_branch .LBB6_299
.LBB6_125:                              ;   in Loop: Header=BB6_49 Depth=1
	s_mov_b64 s[20:21], 0
	s_branch .LBB6_280
.LBB6_126:                              ;   in Loop: Header=BB6_49 Depth=1
	v_lshrrev_b32_e32 v29, 10, v53
	v_sub_u32_e32 v28, v29, v36
	v_cmp_lt_i32_e32 vcc, 0, v28
	s_and_saveexec_b64 s[20:21], vcc
	s_cbranch_execz .LBB6_194
; %bb.127:                              ;   in Loop: Header=BB6_49 Depth=1
	s_trap 2
	buffer_load_dword v12, off, s[0:3], s33 offset:124 ; 4-byte Folded Reload
	buffer_load_dword v13, off, s[0:3], s33 offset:128 ; 4-byte Folded Reload
	ds_read_b64 v[10:11], v0
	s_mov_b64 s[58:59], 0
	s_waitcnt vmcnt(0)
	v_add_co_u32_e32 v45, vcc, v41, v12
	v_addc_co_u32_e32 v46, vcc, v42, v13, vcc
	s_waitcnt lgkmcnt(0)
	v_add_co_u32_e32 v56, vcc, v10, v12
	v_addc_co_u32_e32 v57, vcc, v11, v13, vcc
	v_add_co_u32_e32 v58, vcc, v43, v12
	v_addc_co_u32_e32 v59, vcc, v44, v13, vcc
	s_branch .LBB6_129
.LBB6_128:                              ;   in Loop: Header=BB6_129 Depth=2
	s_or_b64 exec, exec, s[60:61]
	v_lshrrev_b32_e32 v17, 16, v22
	v_add_co_u32_e32 v45, vcc, v45, v30
	v_and_or_b32 v19, v19, s37, v17
	v_lshrrev_b32_e32 v17, 16, v61
	v_lshrrev_b32_e32 v14, 16, v14
	v_addc_co_u32_e32 v46, vcc, 0, v46, vcc
	v_and_or_b32 v18, v18, s37, v17
	v_lshrrev_b32_e32 v17, 16, v23
	v_and_or_b32 v11, v11, s37, v14
	v_lshrrev_b32_e32 v14, 16, v25
	v_add_co_u32_e32 v56, vcc, v56, v30
	v_and_or_b32 v20, v20, s37, v17
	v_lshrrev_b32_e32 v17, 16, v24
	v_and_or_b32 v10, v10, s37, v14
	v_lshrrev_b32_e32 v14, 16, v15
	v_addc_co_u32_e32 v57, vcc, 0, v57, vcc
	v_sub_u32_e32 v28, v28, v62
	v_and_or_b32 v21, v21, s37, v17
	v_and_or_b32 v12, v12, s37, v14
	v_lshrrev_b32_e32 v14, 16, v16
	v_cmp_gt_i32_e32 vcc, 1, v28
	v_and_or_b32 v13, v13, s37, v14
	global_store_dwordx4 v[58:59], v[18:21], off glc slc
	global_store_dwordx4 v[58:59], v[10:13], off offset:1024 glc slc
	s_or_b64 s[58:59], vcc, s[58:59]
	v_add_co_u32_e32 v58, vcc, v58, v30
	v_addc_co_u32_e32 v59, vcc, 0, v59, vcc
	s_andn2_b64 exec, exec, s[58:59]
	s_cbranch_execz .LBB6_193
.LBB6_129:                              ;   Parent Loop BB6_49 Depth=1
                                        ; =>  This Inner Loop Header: Depth=2
	global_load_dwordx4 v[18:21], v[45:46], off glc slc
	global_load_dwordx4 v[22:25], v[56:57], off glc slc
	global_load_dwordx4 v[10:13], v[45:46], off offset:1024 glc slc
	global_load_dwordx4 v[14:17], v[56:57], off offset:1024 glc slc
                                        ; implicit-def: $vgpr61
	s_waitcnt vmcnt(3)
	v_lshlrev_b32_e32 v34, 16, v18
	s_waitcnt vmcnt(2)
	v_lshlrev_b32_e32 v35, 16, v22
	v_add_f32_e32 v50, v34, v35
	v_and_b32_e32 v34, 0x7f800000, v50
	v_cmp_ne_u32_e32 vcc, s35, v34
	s_and_saveexec_b64 s[60:61], vcc
	s_xor_b64 s[60:61], exec, s[60:61]
; %bb.130:                              ;   in Loop: Header=BB6_129 Depth=2
	v_bfe_u32 v34, v50, 16, 1
	v_add3_u32 v61, v50, v34, s36
                                        ; implicit-def: $vgpr50
; %bb.131:                              ;   in Loop: Header=BB6_129 Depth=2
	s_andn2_saveexec_b64 s[60:61], s[60:61]
; %bb.132:                              ;   in Loop: Header=BB6_129 Depth=2
	v_or_b32_e32 v34, 0x10000, v50
	v_cmp_eq_u32_sdwa vcc, v50, v52 src0_sel:WORD_0 src1_sel:DWORD
	v_cndmask_b32_e32 v61, v34, v50, vcc
; %bb.133:                              ;   in Loop: Header=BB6_129 Depth=2
	s_or_b64 exec, exec, s[60:61]
	v_and_b32_e32 v18, 0xffff0000, v18
	v_and_b32_e32 v22, 0xffff0000, v22
	v_add_f32_e32 v22, v18, v22
	v_and_b32_e32 v18, 0x7f800000, v22
	v_cmp_ne_u32_e32 vcc, s35, v18
                                        ; implicit-def: $vgpr18
	s_and_saveexec_b64 s[60:61], vcc
	s_xor_b64 s[60:61], exec, s[60:61]
; %bb.134:                              ;   in Loop: Header=BB6_129 Depth=2
	v_bfe_u32 v18, v22, 16, 1
	v_add3_u32 v18, v22, v18, s36
                                        ; implicit-def: $vgpr22
; %bb.135:                              ;   in Loop: Header=BB6_129 Depth=2
	s_andn2_saveexec_b64 s[60:61], s[60:61]
; %bb.136:                              ;   in Loop: Header=BB6_129 Depth=2
	v_or_b32_e32 v18, 0x10000, v22
	v_cmp_eq_u32_sdwa vcc, v22, v52 src0_sel:WORD_0 src1_sel:DWORD
	v_cndmask_b32_e32 v18, v18, v22, vcc
; %bb.137:                              ;   in Loop: Header=BB6_129 Depth=2
	s_or_b64 exec, exec, s[60:61]
	v_lshlrev_b32_e32 v22, 16, v19
	v_lshlrev_b32_e32 v34, 16, v23
	v_add_f32_e32 v50, v22, v34
	v_and_b32_e32 v22, 0x7f800000, v50
	v_cmp_ne_u32_e32 vcc, s35, v22
                                        ; implicit-def: $vgpr22
	s_and_saveexec_b64 s[60:61], vcc
	s_xor_b64 s[60:61], exec, s[60:61]
; %bb.138:                              ;   in Loop: Header=BB6_129 Depth=2
	v_bfe_u32 v22, v50, 16, 1
	v_add3_u32 v22, v50, v22, s36
                                        ; implicit-def: $vgpr50
; %bb.139:                              ;   in Loop: Header=BB6_129 Depth=2
	s_andn2_saveexec_b64 s[60:61], s[60:61]
; %bb.140:                              ;   in Loop: Header=BB6_129 Depth=2
	v_or_b32_e32 v22, 0x10000, v50
	v_cmp_eq_u32_sdwa vcc, v50, v52 src0_sel:WORD_0 src1_sel:DWORD
	v_cndmask_b32_e32 v22, v22, v50, vcc
; %bb.141:                              ;   in Loop: Header=BB6_129 Depth=2
	s_or_b64 exec, exec, s[60:61]
	v_and_b32_e32 v19, 0xffff0000, v19
	v_and_b32_e32 v23, 0xffff0000, v23
	v_add_f32_e32 v23, v19, v23
	v_and_b32_e32 v19, 0x7f800000, v23
	v_cmp_ne_u32_e32 vcc, s35, v19
                                        ; implicit-def: $vgpr19
	s_and_saveexec_b64 s[60:61], vcc
	s_xor_b64 s[60:61], exec, s[60:61]
; %bb.142:                              ;   in Loop: Header=BB6_129 Depth=2
	v_bfe_u32 v19, v23, 16, 1
	v_add3_u32 v19, v23, v19, s36
                                        ; implicit-def: $vgpr23
; %bb.143:                              ;   in Loop: Header=BB6_129 Depth=2
	s_andn2_saveexec_b64 s[60:61], s[60:61]
; %bb.144:                              ;   in Loop: Header=BB6_129 Depth=2
	v_or_b32_e32 v19, 0x10000, v23
	v_cmp_eq_u32_sdwa vcc, v23, v52 src0_sel:WORD_0 src1_sel:DWORD
	v_cndmask_b32_e32 v19, v19, v23, vcc
; %bb.145:                              ;   in Loop: Header=BB6_129 Depth=2
	s_or_b64 exec, exec, s[60:61]
	v_lshlrev_b32_e32 v23, 16, v20
	v_lshlrev_b32_e32 v34, 16, v24
	v_add_f32_e32 v50, v23, v34
	v_and_b32_e32 v23, 0x7f800000, v50
	v_cmp_ne_u32_e32 vcc, s35, v23
                                        ; implicit-def: $vgpr23
	s_and_saveexec_b64 s[60:61], vcc
	s_xor_b64 s[60:61], exec, s[60:61]
; %bb.146:                              ;   in Loop: Header=BB6_129 Depth=2
	v_bfe_u32 v23, v50, 16, 1
	v_add3_u32 v23, v50, v23, s36
                                        ; implicit-def: $vgpr50
; %bb.147:                              ;   in Loop: Header=BB6_129 Depth=2
	s_andn2_saveexec_b64 s[60:61], s[60:61]
; %bb.148:                              ;   in Loop: Header=BB6_129 Depth=2
	v_or_b32_e32 v23, 0x10000, v50
	v_cmp_eq_u32_sdwa vcc, v50, v52 src0_sel:WORD_0 src1_sel:DWORD
	v_cndmask_b32_e32 v23, v23, v50, vcc
; %bb.149:                              ;   in Loop: Header=BB6_129 Depth=2
	s_or_b64 exec, exec, s[60:61]
	v_and_b32_e32 v20, 0xffff0000, v20
	v_and_b32_e32 v24, 0xffff0000, v24
	v_add_f32_e32 v24, v20, v24
	v_and_b32_e32 v20, 0x7f800000, v24
	v_cmp_ne_u32_e32 vcc, s35, v20
                                        ; implicit-def: $vgpr20
	s_and_saveexec_b64 s[60:61], vcc
	s_xor_b64 s[60:61], exec, s[60:61]
; %bb.150:                              ;   in Loop: Header=BB6_129 Depth=2
	v_bfe_u32 v20, v24, 16, 1
	v_add3_u32 v20, v24, v20, s36
                                        ; implicit-def: $vgpr24
; %bb.151:                              ;   in Loop: Header=BB6_129 Depth=2
	s_andn2_saveexec_b64 s[60:61], s[60:61]
; %bb.152:                              ;   in Loop: Header=BB6_129 Depth=2
	v_or_b32_e32 v20, 0x10000, v24
	v_cmp_eq_u32_sdwa vcc, v24, v52 src0_sel:WORD_0 src1_sel:DWORD
	v_cndmask_b32_e32 v20, v20, v24, vcc
; %bb.153:                              ;   in Loop: Header=BB6_129 Depth=2
	s_or_b64 exec, exec, s[60:61]
	v_lshlrev_b32_e32 v24, 16, v21
	v_lshlrev_b32_e32 v34, 16, v25
	v_add_f32_e32 v50, v24, v34
	v_and_b32_e32 v24, 0x7f800000, v50
	v_cmp_ne_u32_e32 vcc, s35, v24
                                        ; implicit-def: $vgpr24
	s_and_saveexec_b64 s[60:61], vcc
	s_xor_b64 s[60:61], exec, s[60:61]
; %bb.154:                              ;   in Loop: Header=BB6_129 Depth=2
	v_bfe_u32 v24, v50, 16, 1
	v_add3_u32 v24, v50, v24, s36
                                        ; implicit-def: $vgpr50
; %bb.155:                              ;   in Loop: Header=BB6_129 Depth=2
	s_andn2_saveexec_b64 s[60:61], s[60:61]
; %bb.156:                              ;   in Loop: Header=BB6_129 Depth=2
	v_or_b32_e32 v24, 0x10000, v50
	v_cmp_eq_u32_sdwa vcc, v50, v52 src0_sel:WORD_0 src1_sel:DWORD
	v_cndmask_b32_e32 v24, v24, v50, vcc
; %bb.157:                              ;   in Loop: Header=BB6_129 Depth=2
	s_or_b64 exec, exec, s[60:61]
	v_and_b32_e32 v21, 0xffff0000, v21
	v_and_b32_e32 v25, 0xffff0000, v25
	v_add_f32_e32 v25, v21, v25
	v_and_b32_e32 v21, 0x7f800000, v25
	v_cmp_ne_u32_e32 vcc, s35, v21
                                        ; implicit-def: $vgpr21
	s_and_saveexec_b64 s[60:61], vcc
	s_xor_b64 s[60:61], exec, s[60:61]
; %bb.158:                              ;   in Loop: Header=BB6_129 Depth=2
	v_bfe_u32 v21, v25, 16, 1
	v_add3_u32 v21, v25, v21, s36
                                        ; implicit-def: $vgpr25
; %bb.159:                              ;   in Loop: Header=BB6_129 Depth=2
	s_andn2_saveexec_b64 s[60:61], s[60:61]
; %bb.160:                              ;   in Loop: Header=BB6_129 Depth=2
	v_or_b32_e32 v21, 0x10000, v25
	v_cmp_eq_u32_sdwa vcc, v25, v52 src0_sel:WORD_0 src1_sel:DWORD
	v_cndmask_b32_e32 v21, v21, v25, vcc
; %bb.161:                              ;   in Loop: Header=BB6_129 Depth=2
	s_or_b64 exec, exec, s[60:61]
	s_waitcnt vmcnt(1)
	v_lshlrev_b32_e32 v25, 16, v10
	s_waitcnt vmcnt(0)
	v_lshlrev_b32_e32 v34, 16, v14
	v_add_f32_e32 v50, v25, v34
	v_and_b32_e32 v25, 0x7f800000, v50
	v_cmp_ne_u32_e32 vcc, s35, v25
                                        ; implicit-def: $vgpr25
	s_and_saveexec_b64 s[60:61], vcc
	s_xor_b64 s[60:61], exec, s[60:61]
; %bb.162:                              ;   in Loop: Header=BB6_129 Depth=2
	v_bfe_u32 v25, v50, 16, 1
	v_add3_u32 v25, v50, v25, s36
                                        ; implicit-def: $vgpr50
; %bb.163:                              ;   in Loop: Header=BB6_129 Depth=2
	s_andn2_saveexec_b64 s[60:61], s[60:61]
; %bb.164:                              ;   in Loop: Header=BB6_129 Depth=2
	v_or_b32_e32 v25, 0x10000, v50
	v_cmp_eq_u32_sdwa vcc, v50, v52 src0_sel:WORD_0 src1_sel:DWORD
	v_cndmask_b32_e32 v25, v25, v50, vcc
; %bb.165:                              ;   in Loop: Header=BB6_129 Depth=2
	s_or_b64 exec, exec, s[60:61]
	v_and_b32_e32 v10, 0xffff0000, v10
	v_and_b32_e32 v14, 0xffff0000, v14
	v_add_f32_e32 v14, v10, v14
	v_and_b32_e32 v10, 0x7f800000, v14
	v_cmp_ne_u32_e32 vcc, s35, v10
                                        ; implicit-def: $vgpr10
	s_and_saveexec_b64 s[60:61], vcc
	s_xor_b64 s[60:61], exec, s[60:61]
; %bb.166:                              ;   in Loop: Header=BB6_129 Depth=2
	v_bfe_u32 v10, v14, 16, 1
	v_add3_u32 v10, v14, v10, s36
                                        ; implicit-def: $vgpr14
; %bb.167:                              ;   in Loop: Header=BB6_129 Depth=2
	s_andn2_saveexec_b64 s[60:61], s[60:61]
; %bb.168:                              ;   in Loop: Header=BB6_129 Depth=2
	v_or_b32_e32 v10, 0x10000, v14
	v_cmp_eq_u32_sdwa vcc, v14, v52 src0_sel:WORD_0 src1_sel:DWORD
	v_cndmask_b32_e32 v10, v10, v14, vcc
; %bb.169:                              ;   in Loop: Header=BB6_129 Depth=2
	s_or_b64 exec, exec, s[60:61]
	v_lshlrev_b32_e32 v14, 16, v11
	v_lshlrev_b32_e32 v34, 16, v15
	v_add_f32_e32 v50, v14, v34
	v_and_b32_e32 v14, 0x7f800000, v50
	v_cmp_ne_u32_e32 vcc, s35, v14
                                        ; implicit-def: $vgpr14
	s_and_saveexec_b64 s[60:61], vcc
	s_xor_b64 s[60:61], exec, s[60:61]
; %bb.170:                              ;   in Loop: Header=BB6_129 Depth=2
	v_bfe_u32 v14, v50, 16, 1
	v_add3_u32 v14, v50, v14, s36
                                        ; implicit-def: $vgpr50
; %bb.171:                              ;   in Loop: Header=BB6_129 Depth=2
	s_andn2_saveexec_b64 s[60:61], s[60:61]
; %bb.172:                              ;   in Loop: Header=BB6_129 Depth=2
	v_or_b32_e32 v14, 0x10000, v50
	v_cmp_eq_u32_sdwa vcc, v50, v52 src0_sel:WORD_0 src1_sel:DWORD
	v_cndmask_b32_e32 v14, v14, v50, vcc
; %bb.173:                              ;   in Loop: Header=BB6_129 Depth=2
	s_or_b64 exec, exec, s[60:61]
	v_and_b32_e32 v11, 0xffff0000, v11
	v_and_b32_e32 v15, 0xffff0000, v15
	v_add_f32_e32 v15, v11, v15
	v_and_b32_e32 v11, 0x7f800000, v15
	v_cmp_ne_u32_e32 vcc, s35, v11
                                        ; implicit-def: $vgpr11
	s_and_saveexec_b64 s[60:61], vcc
	s_xor_b64 s[60:61], exec, s[60:61]
; %bb.174:                              ;   in Loop: Header=BB6_129 Depth=2
	v_bfe_u32 v11, v15, 16, 1
	v_add3_u32 v11, v15, v11, s36
                                        ; implicit-def: $vgpr15
; %bb.175:                              ;   in Loop: Header=BB6_129 Depth=2
	s_andn2_saveexec_b64 s[60:61], s[60:61]
; %bb.176:                              ;   in Loop: Header=BB6_129 Depth=2
	v_or_b32_e32 v11, 0x10000, v15
	v_cmp_eq_u32_sdwa vcc, v15, v52 src0_sel:WORD_0 src1_sel:DWORD
	v_cndmask_b32_e32 v11, v11, v15, vcc
; %bb.177:                              ;   in Loop: Header=BB6_129 Depth=2
	s_or_b64 exec, exec, s[60:61]
	v_lshlrev_b32_e32 v15, 16, v12
	v_lshlrev_b32_e32 v34, 16, v16
	v_add_f32_e32 v50, v15, v34
	v_and_b32_e32 v15, 0x7f800000, v50
	v_cmp_ne_u32_e32 vcc, s35, v15
                                        ; implicit-def: $vgpr15
	s_and_saveexec_b64 s[60:61], vcc
	s_xor_b64 s[60:61], exec, s[60:61]
; %bb.178:                              ;   in Loop: Header=BB6_129 Depth=2
	v_bfe_u32 v15, v50, 16, 1
	v_add3_u32 v15, v50, v15, s36
                                        ; implicit-def: $vgpr50
; %bb.179:                              ;   in Loop: Header=BB6_129 Depth=2
	s_andn2_saveexec_b64 s[60:61], s[60:61]
; %bb.180:                              ;   in Loop: Header=BB6_129 Depth=2
	v_or_b32_e32 v15, 0x10000, v50
	v_cmp_eq_u32_sdwa vcc, v50, v52 src0_sel:WORD_0 src1_sel:DWORD
	v_cndmask_b32_e32 v15, v15, v50, vcc
; %bb.181:                              ;   in Loop: Header=BB6_129 Depth=2
	s_or_b64 exec, exec, s[60:61]
	v_and_b32_e32 v12, 0xffff0000, v12
	v_and_b32_e32 v16, 0xffff0000, v16
	v_add_f32_e32 v16, v12, v16
	v_and_b32_e32 v12, 0x7f800000, v16
	v_cmp_ne_u32_e32 vcc, s35, v12
                                        ; implicit-def: $vgpr12
	s_and_saveexec_b64 s[60:61], vcc
	s_xor_b64 s[60:61], exec, s[60:61]
; %bb.182:                              ;   in Loop: Header=BB6_129 Depth=2
	v_bfe_u32 v12, v16, 16, 1
	v_add3_u32 v12, v16, v12, s36
                                        ; implicit-def: $vgpr16
; %bb.183:                              ;   in Loop: Header=BB6_129 Depth=2
	s_andn2_saveexec_b64 s[60:61], s[60:61]
; %bb.184:                              ;   in Loop: Header=BB6_129 Depth=2
	v_or_b32_e32 v12, 0x10000, v16
	v_cmp_eq_u32_sdwa vcc, v16, v52 src0_sel:WORD_0 src1_sel:DWORD
	v_cndmask_b32_e32 v12, v12, v16, vcc
; %bb.185:                              ;   in Loop: Header=BB6_129 Depth=2
	s_or_b64 exec, exec, s[60:61]
	v_lshlrev_b32_e32 v16, 16, v13
	v_lshlrev_b32_e32 v34, 16, v17
	v_add_f32_e32 v50, v16, v34
	v_and_b32_e32 v16, 0x7f800000, v50
	v_cmp_ne_u32_e32 vcc, s35, v16
                                        ; implicit-def: $vgpr16
	s_and_saveexec_b64 s[60:61], vcc
	s_xor_b64 s[60:61], exec, s[60:61]
; %bb.186:                              ;   in Loop: Header=BB6_129 Depth=2
	v_bfe_u32 v16, v50, 16, 1
	v_add3_u32 v16, v50, v16, s36
                                        ; implicit-def: $vgpr50
; %bb.187:                              ;   in Loop: Header=BB6_129 Depth=2
	s_andn2_saveexec_b64 s[60:61], s[60:61]
; %bb.188:                              ;   in Loop: Header=BB6_129 Depth=2
	v_or_b32_e32 v16, 0x10000, v50
	v_cmp_eq_u32_sdwa vcc, v50, v52 src0_sel:WORD_0 src1_sel:DWORD
	v_cndmask_b32_e32 v16, v16, v50, vcc
; %bb.189:                              ;   in Loop: Header=BB6_129 Depth=2
	s_or_b64 exec, exec, s[60:61]
	v_and_b32_e32 v13, 0xffff0000, v13
	v_and_b32_e32 v17, 0xffff0000, v17
	v_add_f32_e32 v17, v13, v17
	v_and_b32_e32 v13, 0x7f800000, v17
	v_cmp_ne_u32_e32 vcc, s35, v13
                                        ; implicit-def: $vgpr13
	s_and_saveexec_b64 s[60:61], vcc
	s_xor_b64 s[60:61], exec, s[60:61]
; %bb.190:                              ;   in Loop: Header=BB6_129 Depth=2
	v_bfe_u32 v13, v17, 16, 1
	v_add3_u32 v13, v17, v13, s36
                                        ; implicit-def: $vgpr17
; %bb.191:                              ;   in Loop: Header=BB6_129 Depth=2
	s_andn2_saveexec_b64 s[60:61], s[60:61]
	s_cbranch_execz .LBB6_128
; %bb.192:                              ;   in Loop: Header=BB6_129 Depth=2
	v_or_b32_e32 v13, 0x10000, v17
	v_cmp_eq_u32_sdwa vcc, v17, v52 src0_sel:WORD_0 src1_sel:DWORD
	v_cndmask_b32_e32 v13, v13, v17, vcc
	s_branch .LBB6_128
.LBB6_193:                              ;   in Loop: Header=BB6_49 Depth=1
	s_or_b64 exec, exec, s[58:59]
	v_mov_b32_e32 v57, v48
.LBB6_194:                              ;   in Loop: Header=BB6_49 Depth=1
	s_or_b64 exec, exec, s[20:21]
	v_lshlrev_b32_e32 v24, 11, v29
	v_cmp_ne_u32_e32 vcc, v3, v24
	s_mov_b64 s[60:61], 0
	v_mov_b32_e32 v16, 0
                                        ; implicit-def: $vgpr17
                                        ; implicit-def: $vgpr10
	s_and_saveexec_b64 s[58:59], vcc
	s_cbranch_execz .LBB6_234
; %bb.195:                              ;   in Loop: Header=BB6_49 Depth=1
	buffer_load_dword v12, off, s[0:3], s33 offset:120 ; 4-byte Folded Reload
	v_lshlrev_b32_e32 v10, 6, v28
	v_sub_u32_e32 v11, v3, v24
	s_waitcnt vmcnt(0)
	v_sub_u32_e32 v10, v12, v10
	v_ashrrev_i32_e32 v12, 31, v10
	v_lshrrev_b32_e32 v12, 26, v12
	v_add_u32_e32 v12, v10, v12
	v_ashrrev_i32_e32 v13, 6, v12
	v_and_b32_e32 v12, 0xffffffc0, v12
	v_sub_u32_e32 v25, v10, v12
	v_ashrrev_i32_e32 v12, 31, v11
	v_lshrrev_b32_e32 v12, 22, v12
	v_add_u32_e32 v12, v11, v12
	v_and_b32_e32 v28, 0xfffffc00, v12
	v_lshlrev_b32_e32 v10, 4, v25
	v_sub_u32_e32 v45, v11, v28
	v_lshl_add_u32 v10, v13, 10, v10
	v_ashrrev_i32_e32 v14, 10, v12
	v_cmp_lt_i32_e32 vcc, 15, v45
	v_sub_u32_e32 v46, v11, v10
	v_addc_co_u32_e64 v11, s[20:21], 0, v14, vcc
	v_sub_u32_e32 v29, v11, v13
	v_cmp_lt_i32_e64 s[20:21], 15, v46
	s_and_saveexec_b64 s[60:61], s[20:21]
	s_cbranch_execz .LBB6_231
; %bb.196:                              ;   in Loop: Header=BB6_49 Depth=1
	v_add_u32_e32 v12, v10, v24
	s_trap 2
	ds_read_b64 v[10:11], v0
	v_ashrrev_i32_e32 v13, 31, v12
	v_add_co_u32_e64 v18, s[20:21], v12, v41
	v_addc_co_u32_e64 v19, s[20:21], v13, v42, s[20:21]
	s_waitcnt lgkmcnt(0)
	v_add_co_u32_e64 v20, s[20:21], v10, v12
	v_addc_co_u32_e64 v21, s[20:21], v11, v13, s[20:21]
	v_add_co_u32_e64 v22, s[20:21], v12, v43
	v_addc_co_u32_e64 v23, s[20:21], v13, v44, s[20:21]
	s_mov_b64 s[62:63], 0
	s_branch .LBB6_198
.LBB6_197:                              ;   in Loop: Header=BB6_198 Depth=2
	s_or_b64 exec, exec, s[72:73]
	v_lshrrev_b32_e32 v14, 16, v14
	v_and_or_b32 v11, v11, s37, v14
	v_lshrrev_b32_e32 v14, 16, v56
	v_add_co_u32_e64 v18, s[20:21], v18, v2
	v_and_or_b32 v10, v10, s37, v14
	v_lshrrev_b32_e32 v14, 16, v15
	v_addc_co_u32_e64 v19, s[20:21], 0, v19, s[20:21]
	v_and_or_b32 v12, v12, s37, v14
	v_lshrrev_b32_e32 v14, 16, v16
	v_add_co_u32_e64 v20, s[20:21], v20, v2
	v_and_or_b32 v13, v13, s37, v14
	v_addc_co_u32_e64 v21, s[20:21], 0, v21, s[20:21]
	global_store_dwordx4 v[22:23], v[10:13], off glc slc
	v_add_co_u32_e64 v22, s[20:21], v22, v2
	v_addc_co_u32_e64 v23, s[20:21], 0, v23, s[20:21]
	v_sub_u32_e32 v46, v46, v2
	v_cmp_gt_i32_e64 s[20:21], 16, v46
	s_or_b64 s[62:63], s[20:21], s[62:63]
	v_sub_u32_e32 v29, v29, v62
	s_andn2_b64 exec, exec, s[62:63]
	s_cbranch_execz .LBB6_230
.LBB6_198:                              ;   Parent Loop BB6_49 Depth=1
                                        ; =>  This Inner Loop Header: Depth=2
	global_load_dwordx4 v[10:13], v[20:21], off glc slc
	global_load_dwordx4 v[14:17], v[18:19], off glc slc
                                        ; implicit-def: $vgpr56
	s_waitcnt vmcnt(1)
	v_lshlrev_b32_e32 v34, 16, v10
	s_waitcnt vmcnt(0)
	v_lshlrev_b32_e32 v35, 16, v14
	v_add_f32_e32 v50, v35, v34
	v_and_b32_e32 v34, 0x7f800000, v50
	v_cmp_ne_u32_e64 s[20:21], s35, v34
	s_and_saveexec_b64 s[72:73], s[20:21]
	s_xor_b64 s[20:21], exec, s[72:73]
; %bb.199:                              ;   in Loop: Header=BB6_198 Depth=2
	v_bfe_u32 v34, v50, 16, 1
	v_add3_u32 v56, v50, v34, s36
                                        ; implicit-def: $vgpr50
; %bb.200:                              ;   in Loop: Header=BB6_198 Depth=2
	s_andn2_saveexec_b64 s[72:73], s[20:21]
; %bb.201:                              ;   in Loop: Header=BB6_198 Depth=2
	v_or_b32_e32 v34, 0x10000, v50
	v_cmp_eq_u32_sdwa s[20:21], v50, v52 src0_sel:WORD_0 src1_sel:DWORD
	v_cndmask_b32_e64 v56, v34, v50, s[20:21]
; %bb.202:                              ;   in Loop: Header=BB6_198 Depth=2
	s_or_b64 exec, exec, s[72:73]
	v_and_b32_e32 v10, 0xffff0000, v10
	v_and_b32_e32 v14, 0xffff0000, v14
	v_add_f32_e32 v14, v14, v10
	v_and_b32_e32 v10, 0x7f800000, v14
	v_cmp_ne_u32_e64 s[20:21], s35, v10
                                        ; implicit-def: $vgpr10
	s_and_saveexec_b64 s[72:73], s[20:21]
	s_xor_b64 s[20:21], exec, s[72:73]
; %bb.203:                              ;   in Loop: Header=BB6_198 Depth=2
	v_bfe_u32 v10, v14, 16, 1
	v_add3_u32 v10, v14, v10, s36
                                        ; implicit-def: $vgpr14
; %bb.204:                              ;   in Loop: Header=BB6_198 Depth=2
	s_andn2_saveexec_b64 s[72:73], s[20:21]
; %bb.205:                              ;   in Loop: Header=BB6_198 Depth=2
	v_or_b32_e32 v10, 0x10000, v14
	v_cmp_eq_u32_sdwa s[20:21], v14, v52 src0_sel:WORD_0 src1_sel:DWORD
	v_cndmask_b32_e64 v10, v10, v14, s[20:21]
; %bb.206:                              ;   in Loop: Header=BB6_198 Depth=2
	s_or_b64 exec, exec, s[72:73]
	v_lshlrev_b32_e32 v14, 16, v11
	v_lshlrev_b32_e32 v34, 16, v15
	v_add_f32_e32 v50, v34, v14
	v_and_b32_e32 v14, 0x7f800000, v50
	v_cmp_ne_u32_e64 s[20:21], s35, v14
                                        ; implicit-def: $vgpr14
	s_and_saveexec_b64 s[72:73], s[20:21]
	s_xor_b64 s[20:21], exec, s[72:73]
; %bb.207:                              ;   in Loop: Header=BB6_198 Depth=2
	v_bfe_u32 v14, v50, 16, 1
	v_add3_u32 v14, v50, v14, s36
                                        ; implicit-def: $vgpr50
; %bb.208:                              ;   in Loop: Header=BB6_198 Depth=2
	s_andn2_saveexec_b64 s[72:73], s[20:21]
; %bb.209:                              ;   in Loop: Header=BB6_198 Depth=2
	v_or_b32_e32 v14, 0x10000, v50
	v_cmp_eq_u32_sdwa s[20:21], v50, v52 src0_sel:WORD_0 src1_sel:DWORD
	v_cndmask_b32_e64 v14, v14, v50, s[20:21]
; %bb.210:                              ;   in Loop: Header=BB6_198 Depth=2
	s_or_b64 exec, exec, s[72:73]
	v_and_b32_e32 v15, 0xffff0000, v15
	v_and_b32_e32 v11, 0xffff0000, v11
	v_add_f32_e32 v15, v15, v11
	v_and_b32_e32 v11, 0x7f800000, v15
	v_cmp_ne_u32_e64 s[20:21], s35, v11
                                        ; implicit-def: $vgpr11
	s_and_saveexec_b64 s[72:73], s[20:21]
	s_xor_b64 s[20:21], exec, s[72:73]
; %bb.211:                              ;   in Loop: Header=BB6_198 Depth=2
	v_bfe_u32 v11, v15, 16, 1
	v_add3_u32 v11, v15, v11, s36
                                        ; implicit-def: $vgpr15
; %bb.212:                              ;   in Loop: Header=BB6_198 Depth=2
	s_andn2_saveexec_b64 s[72:73], s[20:21]
; %bb.213:                              ;   in Loop: Header=BB6_198 Depth=2
	v_or_b32_e32 v11, 0x10000, v15
	v_cmp_eq_u32_sdwa s[20:21], v15, v52 src0_sel:WORD_0 src1_sel:DWORD
	v_cndmask_b32_e64 v11, v11, v15, s[20:21]
; %bb.214:                              ;   in Loop: Header=BB6_198 Depth=2
	s_or_b64 exec, exec, s[72:73]
	v_lshlrev_b32_e32 v15, 16, v12
	v_lshlrev_b32_e32 v34, 16, v16
	v_add_f32_e32 v50, v34, v15
	v_and_b32_e32 v15, 0x7f800000, v50
	v_cmp_ne_u32_e64 s[20:21], s35, v15
                                        ; implicit-def: $vgpr15
	s_and_saveexec_b64 s[72:73], s[20:21]
	s_xor_b64 s[20:21], exec, s[72:73]
; %bb.215:                              ;   in Loop: Header=BB6_198 Depth=2
	v_bfe_u32 v15, v50, 16, 1
	v_add3_u32 v15, v50, v15, s36
                                        ; implicit-def: $vgpr50
; %bb.216:                              ;   in Loop: Header=BB6_198 Depth=2
	s_andn2_saveexec_b64 s[72:73], s[20:21]
; %bb.217:                              ;   in Loop: Header=BB6_198 Depth=2
	v_or_b32_e32 v15, 0x10000, v50
	v_cmp_eq_u32_sdwa s[20:21], v50, v52 src0_sel:WORD_0 src1_sel:DWORD
	v_cndmask_b32_e64 v15, v15, v50, s[20:21]
; %bb.218:                              ;   in Loop: Header=BB6_198 Depth=2
	s_or_b64 exec, exec, s[72:73]
	v_and_b32_e32 v16, 0xffff0000, v16
	v_and_b32_e32 v12, 0xffff0000, v12
	v_add_f32_e32 v16, v16, v12
	v_and_b32_e32 v12, 0x7f800000, v16
	v_cmp_ne_u32_e64 s[20:21], s35, v12
                                        ; implicit-def: $vgpr12
	s_and_saveexec_b64 s[72:73], s[20:21]
	s_xor_b64 s[20:21], exec, s[72:73]
; %bb.219:                              ;   in Loop: Header=BB6_198 Depth=2
	v_bfe_u32 v12, v16, 16, 1
	v_add3_u32 v12, v16, v12, s36
                                        ; implicit-def: $vgpr16
; %bb.220:                              ;   in Loop: Header=BB6_198 Depth=2
	s_andn2_saveexec_b64 s[72:73], s[20:21]
; %bb.221:                              ;   in Loop: Header=BB6_198 Depth=2
	v_or_b32_e32 v12, 0x10000, v16
	v_cmp_eq_u32_sdwa s[20:21], v16, v52 src0_sel:WORD_0 src1_sel:DWORD
	v_cndmask_b32_e64 v12, v12, v16, s[20:21]
; %bb.222:                              ;   in Loop: Header=BB6_198 Depth=2
	s_or_b64 exec, exec, s[72:73]
	v_lshlrev_b32_e32 v16, 16, v13
	v_lshlrev_b32_e32 v34, 16, v17
	v_add_f32_e32 v50, v34, v16
	v_and_b32_e32 v16, 0x7f800000, v50
	v_cmp_ne_u32_e64 s[20:21], s35, v16
                                        ; implicit-def: $vgpr16
	s_and_saveexec_b64 s[72:73], s[20:21]
	s_xor_b64 s[20:21], exec, s[72:73]
; %bb.223:                              ;   in Loop: Header=BB6_198 Depth=2
	v_bfe_u32 v16, v50, 16, 1
	v_add3_u32 v16, v50, v16, s36
                                        ; implicit-def: $vgpr50
; %bb.224:                              ;   in Loop: Header=BB6_198 Depth=2
	s_andn2_saveexec_b64 s[72:73], s[20:21]
; %bb.225:                              ;   in Loop: Header=BB6_198 Depth=2
	v_or_b32_e32 v16, 0x10000, v50
	v_cmp_eq_u32_sdwa s[20:21], v50, v52 src0_sel:WORD_0 src1_sel:DWORD
	v_cndmask_b32_e64 v16, v16, v50, s[20:21]
; %bb.226:                              ;   in Loop: Header=BB6_198 Depth=2
	s_or_b64 exec, exec, s[72:73]
	v_and_b32_e32 v17, 0xffff0000, v17
	v_and_b32_e32 v13, 0xffff0000, v13
	v_add_f32_e32 v17, v17, v13
	v_and_b32_e32 v13, 0x7f800000, v17
	v_cmp_ne_u32_e64 s[20:21], s35, v13
                                        ; implicit-def: $vgpr13
	s_and_saveexec_b64 s[72:73], s[20:21]
	s_xor_b64 s[20:21], exec, s[72:73]
; %bb.227:                              ;   in Loop: Header=BB6_198 Depth=2
	v_bfe_u32 v13, v17, 16, 1
	v_add3_u32 v13, v17, v13, s36
                                        ; implicit-def: $vgpr17
; %bb.228:                              ;   in Loop: Header=BB6_198 Depth=2
	s_andn2_saveexec_b64 s[72:73], s[20:21]
	s_cbranch_execz .LBB6_197
; %bb.229:                              ;   in Loop: Header=BB6_198 Depth=2
	v_or_b32_e32 v13, 0x10000, v17
	v_cmp_eq_u32_sdwa s[20:21], v17, v52 src0_sel:WORD_0 src1_sel:DWORD
	v_cndmask_b32_e64 v13, v13, v17, s[20:21]
	s_branch .LBB6_197
.LBB6_230:                              ;   in Loop: Header=BB6_49 Depth=1
	s_or_b64 exec, exec, s[62:63]
.LBB6_231:                              ;   in Loop: Header=BB6_49 Depth=1
	s_or_b64 exec, exec, s[60:61]
	v_and_b32_e32 v11, 14, v3
	v_cndmask_b32_e32 v3, v45, v11, vcc
	v_mov_b32_e32 v16, 0
	v_cmp_ne_u32_e64 s[20:21], 0, v3
	s_mov_b64 s[60:61], 0
                                        ; implicit-def: $vgpr17
                                        ; implicit-def: $vgpr10
	s_and_saveexec_b64 s[62:63], s[20:21]
	s_cbranch_execz .LBB6_233
; %bb.232:                              ;   in Loop: Header=BB6_49 Depth=1
	v_sub_u32_e32 v10, v45, v11
	v_cndmask_b32_e32 v10, 0, v10, vcc
	v_cmp_lt_i32_e32 vcc, 0, v29
	v_add3_u32 v16, v28, v24, v10
	v_cndmask_b32_e32 v10, 0, v62, vcc
	v_sub_u32_e32 v10, v10, v29
	v_lshl_add_u32 v17, v10, 6, v25
	v_ashrrev_i32_e32 v10, 31, v17
	v_lshrrev_b32_e32 v10, 26, v10
	v_add_u32_e32 v10, v17, v10
	s_mov_b64 s[60:61], exec
	v_ashrrev_i32_e32 v10, 6, v10
.LBB6_233:                              ;   in Loop: Header=BB6_49 Depth=1
	s_or_b64 exec, exec, s[62:63]
	s_and_b64 s[60:61], s[60:61], exec
.LBB6_234:                              ;   in Loop: Header=BB6_49 Depth=1
	s_or_b64 exec, exec, s[58:59]
	v_mov_b32_e32 v21, v37
	s_and_saveexec_b64 s[20:21], s[60:61]
	s_cbranch_execz .LBB6_279
.LBB6_235:                              ;   in Loop: Header=BB6_49 Depth=1
	v_ashrrev_i32_e32 v11, 31, v3
	v_lshrrev_b32_e32 v11, 22, v11
	v_add_u32_e32 v11, v3, v11
	v_ashrrev_i32_e32 v20, 10, v11
	v_sub_u32_e32 v18, v20, v10
	v_ashrrev_i32_e32 v11, 31, v17
	v_cmp_lt_i32_e32 vcc, 0, v18
	v_lshrrev_b32_e32 v19, 26, v11
	s_and_saveexec_b64 s[58:59], vcc
	s_cbranch_execz .LBB6_271
; %bb.236:                              ;   in Loop: Header=BB6_49 Depth=1
	v_add_u32_e32 v11, v17, v19
	v_and_b32_e32 v11, 0x7fffffc0, v11
	v_sub_u32_e32 v11, v17, v11
	s_trap 2
	ds_read_b64 v[12:13], v0
	v_lshlrev_b32_e32 v11, 1, v11
	v_lshlrev_b32_e32 v10, 10, v10
	v_add3_u32 v14, v11, v16, v10
	v_ashrrev_i32_e32 v15, 31, v14
	v_add_co_u32_e32 v10, vcc, v14, v41
	v_addc_co_u32_e32 v11, vcc, v15, v42, vcc
	s_waitcnt lgkmcnt(0)
	v_add_co_u32_e32 v12, vcc, v12, v14
	v_addc_co_u32_e32 v13, vcc, v13, v15, vcc
	v_add_co_u32_e32 v21, vcc, 0x380, v43
	v_addc_co_u32_e32 v22, vcc, 0, v44, vcc
	;; [unrolled: 2-line block ×3, first 2 shown]
	s_mov_b64 s[60:61], 0
	s_branch .LBB6_238
.LBB6_237:                              ;   in Loop: Header=BB6_238 Depth=2
	s_or_b64 exec, exec, s[62:63]
	v_add_co_u32_e32 v34, vcc, 0xfffffc80, v14
	v_addc_co_u32_e32 v35, vcc, -1, v15, vcc
	flat_store_short_d16_hi v[34:35], v21 glc slc
	v_add_co_u32_e32 v34, vcc, 0xfffffd00, v14
	v_addc_co_u32_e32 v35, vcc, -1, v15, vcc
	v_add_co_u32_e32 v23, vcc, 0xfffffd80, v14
	flat_store_short_d16_hi v[34:35], v24 glc slc
	v_addc_co_u32_e32 v24, vcc, -1, v15, vcc
	flat_store_short_d16_hi v[23:24], v28 glc slc
	v_add_co_u32_e32 v23, vcc, 0xfffffe00, v14
	v_addc_co_u32_e32 v24, vcc, -1, v15, vcc
	flat_store_short_d16_hi v[23:24], v45 glc slc
	v_add_co_u32_e32 v23, vcc, 0xfffffe80, v14
	;; [unrolled: 3-line block ×4, first 2 shown]
	v_addc_co_u32_e32 v24, vcc, -1, v15, vcc
	v_add_co_u32_e32 v10, vcc, v10, v2
	v_addc_co_u32_e32 v11, vcc, 0, v11, vcc
	v_add_co_u32_e32 v12, vcc, v12, v2
	v_addc_co_u32_e32 v13, vcc, 0, v13, vcc
	v_sub_u32_e32 v18, v18, v62
	v_cmp_gt_i32_e32 vcc, 1, v18
	flat_store_short_d16_hi v[23:24], v25 glc slc
	flat_store_short_d16_hi v[14:15], v22 glc slc
	s_or_b64 s[60:61], vcc, s[60:61]
	v_add_co_u32_e32 v14, vcc, v14, v2
	v_addc_co_u32_e32 v15, vcc, 0, v15, vcc
	s_andn2_b64 exec, exec, s[60:61]
	s_cbranch_execz .LBB6_270
.LBB6_238:                              ;   Parent Loop BB6_49 Depth=1
                                        ; =>  This Inner Loop Header: Depth=2
	flat_load_ushort v28, v[10:11] offset:256 glc slc
	flat_load_ushort v45, v[10:11] offset:384 glc slc
	;; [unrolled: 1-line block ×6, first 2 shown]
	flat_load_ushort v21, v[10:11] glc slc
	flat_load_ushort v24, v[10:11] offset:128 glc slc
	flat_load_ushort v61, v[12:13] offset:256 glc slc
	;; [unrolled: 1-line block ×3, first 2 shown]
	flat_load_ushort v34, v[12:13] glc slc
	flat_load_ushort v58, v[12:13] offset:512 glc slc
	flat_load_ushort v56, v[12:13] offset:640 glc slc
	;; [unrolled: 1-line block ×5, first 2 shown]
	s_waitcnt vmcnt(0) lgkmcnt(0)
	v_lshlrev_b32_e32 v21, 16, v21
	v_lshlrev_b32_e32 v34, 16, v34
	v_add_f32_e32 v51, v21, v34
	v_and_b32_e32 v21, 0x7f800000, v51
	v_cmp_ne_u32_e32 vcc, s35, v21
                                        ; implicit-def: $vgpr21
	s_and_saveexec_b64 s[62:63], vcc
	s_xor_b64 s[62:63], exec, s[62:63]
; %bb.239:                              ;   in Loop: Header=BB6_238 Depth=2
	v_bfe_u32 v21, v51, 16, 1
	v_add3_u32 v21, v51, v21, s36
                                        ; implicit-def: $vgpr51
; %bb.240:                              ;   in Loop: Header=BB6_238 Depth=2
	s_andn2_saveexec_b64 s[62:63], s[62:63]
; %bb.241:                              ;   in Loop: Header=BB6_238 Depth=2
	v_or_b32_e32 v21, 0x10000, v51
	v_cmp_eq_u32_sdwa vcc, v51, v52 src0_sel:WORD_0 src1_sel:DWORD
	v_cndmask_b32_e32 v21, v21, v51, vcc
; %bb.242:                              ;   in Loop: Header=BB6_238 Depth=2
	s_or_b64 exec, exec, s[62:63]
	v_lshlrev_b32_e32 v24, 16, v24
	v_lshlrev_b32_e32 v34, 16, v50
	v_add_f32_e32 v50, v24, v34
	v_and_b32_e32 v24, 0x7f800000, v50
	v_cmp_ne_u32_e32 vcc, s35, v24
                                        ; implicit-def: $vgpr24
	s_and_saveexec_b64 s[62:63], vcc
	s_xor_b64 s[62:63], exec, s[62:63]
; %bb.243:                              ;   in Loop: Header=BB6_238 Depth=2
	v_bfe_u32 v24, v50, 16, 1
	v_add3_u32 v24, v50, v24, s36
                                        ; implicit-def: $vgpr50
; %bb.244:                              ;   in Loop: Header=BB6_238 Depth=2
	s_andn2_saveexec_b64 s[62:63], s[62:63]
; %bb.245:                              ;   in Loop: Header=BB6_238 Depth=2
	v_or_b32_e32 v24, 0x10000, v50
	v_cmp_eq_u32_sdwa vcc, v50, v52 src0_sel:WORD_0 src1_sel:DWORD
	v_cndmask_b32_e32 v24, v24, v50, vcc
; %bb.246:                              ;   in Loop: Header=BB6_238 Depth=2
	s_or_b64 exec, exec, s[62:63]
	v_lshlrev_b32_e32 v28, 16, v28
	v_lshlrev_b32_e32 v34, 16, v61
	v_add_f32_e32 v50, v28, v34
	v_and_b32_e32 v28, 0x7f800000, v50
	v_cmp_ne_u32_e32 vcc, s35, v28
                                        ; implicit-def: $vgpr28
	s_and_saveexec_b64 s[62:63], vcc
	s_xor_b64 s[62:63], exec, s[62:63]
; %bb.247:                              ;   in Loop: Header=BB6_238 Depth=2
	v_bfe_u32 v28, v50, 16, 1
	v_add3_u32 v28, v50, v28, s36
                                        ; implicit-def: $vgpr50
; %bb.248:                              ;   in Loop: Header=BB6_238 Depth=2
	s_andn2_saveexec_b64 s[62:63], s[62:63]
; %bb.249:                              ;   in Loop: Header=BB6_238 Depth=2
	v_or_b32_e32 v28, 0x10000, v50
	v_cmp_eq_u32_sdwa vcc, v50, v52 src0_sel:WORD_0 src1_sel:DWORD
	v_cndmask_b32_e32 v28, v28, v50, vcc
; %bb.250:                              ;   in Loop: Header=BB6_238 Depth=2
	s_or_b64 exec, exec, s[62:63]
	v_lshlrev_b32_e32 v34, 16, v45
	v_lshlrev_b32_e32 v35, 16, v59
	v_add_f32_e32 v50, v34, v35
	v_and_b32_e32 v34, 0x7f800000, v50
	v_cmp_ne_u32_e32 vcc, s35, v34
                                        ; implicit-def: $vgpr45
	s_and_saveexec_b64 s[62:63], vcc
	s_xor_b64 s[62:63], exec, s[62:63]
; %bb.251:                              ;   in Loop: Header=BB6_238 Depth=2
	v_bfe_u32 v34, v50, 16, 1
	v_add3_u32 v45, v50, v34, s36
                                        ; implicit-def: $vgpr50
; %bb.252:                              ;   in Loop: Header=BB6_238 Depth=2
	s_andn2_saveexec_b64 s[62:63], s[62:63]
; %bb.253:                              ;   in Loop: Header=BB6_238 Depth=2
	v_or_b32_e32 v34, 0x10000, v50
	v_cmp_eq_u32_sdwa vcc, v50, v52 src0_sel:WORD_0 src1_sel:DWORD
	v_cndmask_b32_e32 v45, v34, v50, vcc
; %bb.254:                              ;   in Loop: Header=BB6_238 Depth=2
	s_or_b64 exec, exec, s[62:63]
	v_lshlrev_b32_e32 v34, 16, v57
	v_lshlrev_b32_e32 v35, 16, v58
	v_add_f32_e32 v50, v34, v35
	v_and_b32_e32 v34, 0x7f800000, v50
	v_cmp_ne_u32_e32 vcc, s35, v34
                                        ; implicit-def: $vgpr57
	s_and_saveexec_b64 s[62:63], vcc
	s_xor_b64 s[62:63], exec, s[62:63]
; %bb.255:                              ;   in Loop: Header=BB6_238 Depth=2
	v_bfe_u32 v34, v50, 16, 1
	v_add3_u32 v57, v50, v34, s36
                                        ; implicit-def: $vgpr50
; %bb.256:                              ;   in Loop: Header=BB6_238 Depth=2
	s_andn2_saveexec_b64 s[62:63], s[62:63]
; %bb.257:                              ;   in Loop: Header=BB6_238 Depth=2
	v_or_b32_e32 v34, 0x10000, v50
	v_cmp_eq_u32_sdwa vcc, v50, v52 src0_sel:WORD_0 src1_sel:DWORD
	v_cndmask_b32_e32 v57, v34, v50, vcc
; %bb.258:                              ;   in Loop: Header=BB6_238 Depth=2
	s_or_b64 exec, exec, s[62:63]
	v_lshlrev_b32_e32 v34, 16, v46
	v_lshlrev_b32_e32 v35, 16, v56
	v_add_f32_e32 v50, v34, v35
	v_and_b32_e32 v34, 0x7f800000, v50
	v_cmp_ne_u32_e32 vcc, s35, v34
                                        ; implicit-def: $vgpr46
	s_and_saveexec_b64 s[62:63], vcc
	s_xor_b64 s[62:63], exec, s[62:63]
; %bb.259:                              ;   in Loop: Header=BB6_238 Depth=2
	v_bfe_u32 v34, v50, 16, 1
	v_add3_u32 v46, v50, v34, s36
                                        ; implicit-def: $vgpr50
; %bb.260:                              ;   in Loop: Header=BB6_238 Depth=2
	s_andn2_saveexec_b64 s[62:63], s[62:63]
; %bb.261:                              ;   in Loop: Header=BB6_238 Depth=2
	v_or_b32_e32 v34, 0x10000, v50
	v_cmp_eq_u32_sdwa vcc, v50, v52 src0_sel:WORD_0 src1_sel:DWORD
	v_cndmask_b32_e32 v46, v34, v50, vcc
; %bb.262:                              ;   in Loop: Header=BB6_238 Depth=2
	s_or_b64 exec, exec, s[62:63]
	v_lshlrev_b32_e32 v25, 16, v25
	v_lshlrev_b32_e32 v29, 16, v29
	v_add_f32_e32 v29, v25, v29
	v_and_b32_e32 v25, 0x7f800000, v29
	v_cmp_ne_u32_e32 vcc, s35, v25
                                        ; implicit-def: $vgpr25
	s_and_saveexec_b64 s[62:63], vcc
	s_xor_b64 s[62:63], exec, s[62:63]
; %bb.263:                              ;   in Loop: Header=BB6_238 Depth=2
	v_bfe_u32 v25, v29, 16, 1
	v_add3_u32 v25, v29, v25, s36
                                        ; implicit-def: $vgpr29
; %bb.264:                              ;   in Loop: Header=BB6_238 Depth=2
	s_andn2_saveexec_b64 s[62:63], s[62:63]
; %bb.265:                              ;   in Loop: Header=BB6_238 Depth=2
	v_or_b32_e32 v25, 0x10000, v29
	v_cmp_eq_u32_sdwa vcc, v29, v52 src0_sel:WORD_0 src1_sel:DWORD
	v_cndmask_b32_e32 v25, v25, v29, vcc
; %bb.266:                              ;   in Loop: Header=BB6_238 Depth=2
	s_or_b64 exec, exec, s[62:63]
	v_lshlrev_b32_e32 v22, 16, v22
	v_lshlrev_b32_e32 v23, 16, v23
	v_add_f32_e32 v23, v22, v23
	v_and_b32_e32 v22, 0x7f800000, v23
	v_cmp_ne_u32_e32 vcc, s35, v22
                                        ; implicit-def: $vgpr22
	s_and_saveexec_b64 s[62:63], vcc
	s_xor_b64 s[62:63], exec, s[62:63]
; %bb.267:                              ;   in Loop: Header=BB6_238 Depth=2
	v_bfe_u32 v22, v23, 16, 1
	v_add3_u32 v22, v23, v22, s36
                                        ; implicit-def: $vgpr23
; %bb.268:                              ;   in Loop: Header=BB6_238 Depth=2
	s_andn2_saveexec_b64 s[62:63], s[62:63]
	s_cbranch_execz .LBB6_237
; %bb.269:                              ;   in Loop: Header=BB6_238 Depth=2
	v_or_b32_e32 v22, 0x10000, v23
	v_cmp_eq_u32_sdwa vcc, v23, v52 src0_sel:WORD_0 src1_sel:DWORD
	v_cndmask_b32_e32 v22, v22, v23, vcc
	s_branch .LBB6_237
.LBB6_270:                              ;   in Loop: Header=BB6_49 Depth=1
	s_or_b64 exec, exec, s[60:61]
	v_mov_b32_e32 v57, v48
	v_mov_b32_e32 v21, v37
.LBB6_271:                              ;   in Loop: Header=BB6_49 Depth=1
	s_or_b64 exec, exec, s[58:59]
	v_lshlrev_b32_e32 v10, 10, v20
	v_cmp_ne_u32_e32 vcc, v3, v10
	s_and_b64 exec, exec, vcc
	s_cbranch_execz .LBB6_279
; %bb.272:                              ;   in Loop: Header=BB6_49 Depth=1
	v_add_u32_e32 v11, v17, v19
	v_and_b32_e32 v11, 0xffffffc0, v11
	v_sub_u32_e32 v11, v17, v11
	v_lshlrev_b32_e32 v12, 6, v18
	v_sub_u32_e32 v11, v11, v12
	v_ashrrev_i32_e32 v12, 31, v11
	v_lshrrev_b32_e32 v12, 26, v12
	v_add_u32_e32 v12, v11, v12
	v_and_b32_e32 v13, 0x7fffffc0, v12
	v_sub_u32_e32 v11, v11, v13
	v_lshlrev_b32_e32 v12, 1, v12
	v_and_b32_e32 v12, 0xffffff80, v12
	v_lshlrev_b32_e32 v11, 1, v11
	v_add3_u32 v10, v12, v11, v10
	v_sub_u32_e32 v3, v3, v10
	v_cmp_lt_i32_e32 vcc, 1, v3
	s_and_b64 exec, exec, vcc
	s_cbranch_execz .LBB6_279
; %bb.273:                              ;   in Loop: Header=BB6_49 Depth=1
	s_trap 2
	ds_read_b64 v[12:13], v0
	v_add_u32_e32 v14, v10, v16
	v_ashrrev_i32_e32 v15, 31, v14
	v_add_co_u32_e32 v10, vcc, v14, v41
	v_addc_co_u32_e32 v11, vcc, v15, v42, vcc
	s_waitcnt lgkmcnt(0)
	v_add_co_u32_e32 v12, vcc, v12, v14
	v_addc_co_u32_e32 v13, vcc, v13, v15, vcc
	v_add_co_u32_e32 v14, vcc, v14, v43
	v_addc_co_u32_e32 v15, vcc, v15, v44, vcc
	s_mov_b64 s[58:59], 0
	s_branch .LBB6_275
.LBB6_274:                              ;   in Loop: Header=BB6_275 Depth=2
	s_or_b64 exec, exec, s[60:61]
	v_add_co_u32_e32 v10, vcc, v10, v47
	v_addc_co_u32_e32 v11, vcc, 0, v11, vcc
	v_add_co_u32_e32 v12, vcc, v12, v47
	v_addc_co_u32_e32 v13, vcc, 0, v13, vcc
	v_sub_u32_e32 v3, v3, v47
	v_cmp_gt_i32_e32 vcc, 2, v3
	flat_store_short_d16_hi v[14:15], v17 glc slc
	s_or_b64 s[58:59], vcc, s[58:59]
	v_add_co_u32_e32 v14, vcc, v14, v47
	v_addc_co_u32_e32 v15, vcc, 0, v15, vcc
	s_andn2_b64 exec, exec, s[58:59]
	s_cbranch_execz .LBB6_279
.LBB6_275:                              ;   Parent Loop BB6_49 Depth=1
                                        ; =>  This Inner Loop Header: Depth=2
	flat_load_ushort v16, v[12:13] glc slc
	flat_load_ushort v17, v[10:11] glc slc
	s_waitcnt vmcnt(0) lgkmcnt(0)
	v_lshlrev_b32_e32 v16, 16, v16
	v_lshlrev_b32_e32 v17, 16, v17
	v_add_f32_e32 v16, v17, v16
	v_and_b32_e32 v17, 0x7f800000, v16
	v_cmp_ne_u32_e32 vcc, s35, v17
                                        ; implicit-def: $vgpr17
	s_and_saveexec_b64 s[60:61], vcc
	s_xor_b64 s[60:61], exec, s[60:61]
; %bb.276:                              ;   in Loop: Header=BB6_275 Depth=2
	v_bfe_u32 v17, v16, 16, 1
	v_add3_u32 v17, v16, v17, s36
                                        ; implicit-def: $vgpr16
; %bb.277:                              ;   in Loop: Header=BB6_275 Depth=2
	s_andn2_saveexec_b64 s[60:61], s[60:61]
	s_cbranch_execz .LBB6_274
; %bb.278:                              ;   in Loop: Header=BB6_275 Depth=2
	v_or_b32_e32 v17, 0x10000, v16
	v_cmp_eq_u32_sdwa vcc, v16, v52 src0_sel:WORD_0 src1_sel:DWORD
	v_cndmask_b32_e32 v17, v17, v16, vcc
	s_branch .LBB6_274
.LBB6_279:                              ;   in Loop: Header=BB6_49 Depth=1
	s_or_b64 exec, exec, s[20:21]
	v_cmp_ne_u32_e64 s[20:21], 0, v53
.LBB6_280:                              ;   in Loop: Header=BB6_49 Depth=1
	buffer_load_dword v10, off, s[0:3], s33 offset:76 ; 4-byte Folded Reload
	buffer_load_dword v11, off, s[0:3], s33 offset:80 ; 4-byte Folded Reload
	;; [unrolled: 1-line block ×4, first 2 shown]
	s_waitcnt vmcnt(0)
	v_mov_b32_e32 v35, v11
	v_mov_b32_e32 v34, v10
	s_and_saveexec_b64 s[58:59], s[10:11]
	s_cbranch_execz .LBB6_299
.LBB6_281:                              ;   in Loop: Header=BB6_49 Depth=1
	s_and_saveexec_b64 s[60:61], s[40:41]
	s_xor_b64 s[60:61], exec, s[60:61]
	s_cbranch_execz .LBB6_296
; %bb.282:                              ;   in Loop: Header=BB6_49 Depth=1
	s_and_saveexec_b64 s[62:63], s[12:13]
	s_cbranch_execz .LBB6_295
; %bb.283:                              ;   in Loop: Header=BB6_49 Depth=1
	s_mov_b64 s[74:75], exec
	v_mbcnt_lo_u32_b32 v3, s74, 0
	v_mbcnt_hi_u32_b32 v3, s75, v3
	v_cmp_eq_u32_e32 vcc, 0, v3
	s_waitcnt vmcnt(0) lgkmcnt(0)
	buffer_wbinvl1_vol
	s_and_saveexec_b64 s[72:73], vcc
	s_cbranch_execz .LBB6_285
; %bb.284:                              ;   in Loop: Header=BB6_49 Depth=1
	s_bcnt1_i32_b64 s74, s[74:75]
	v_mov_b32_e32 v10, s74
	v_mov_b32_e32 v11, v52
	ds_add_u64 v0, v[10:11]
	s_trap 2
.LBB6_285:                              ;   in Loop: Header=BB6_49 Depth=1
	s_or_b64 exec, exec, s[72:73]
	s_trap 2
	ds_read_b64 v[10:11], v0
	s_waitcnt lgkmcnt(0)
	v_add_co_u32_e32 v26, vcc, v26, v62
	v_addc_co_u32_e32 v27, vcc, 0, v27, vcc
	v_cmp_lt_u64_e32 vcc, v[10:11], v[26:27]
	s_and_saveexec_b64 s[72:73], vcc
	s_cbranch_execz .LBB6_294
; %bb.286:                              ;   in Loop: Header=BB6_49 Depth=1
	s_mov_b32 s94, 0
	s_mov_b64 s[74:75], 0
                                        ; implicit-def: $sgpr76_sgpr77
                                        ; implicit-def: $sgpr78_sgpr79
	s_branch .LBB6_288
.LBB6_287:                              ;   in Loop: Header=BB6_288 Depth=2
	s_or_b64 exec, exec, s[90:91]
	s_and_b64 s[88:89], exec, s[92:93]
	s_or_b64 s[74:75], s[88:89], s[74:75]
	s_andn2_b64 s[76:77], s[76:77], exec
	s_and_b64 s[88:89], s[78:79], exec
	s_or_b64 s[76:77], s[76:77], s[88:89]
	s_andn2_b64 exec, exec, s[74:75]
	s_cbranch_execz .LBB6_292
.LBB6_288:                              ;   Parent Loop BB6_49 Depth=1
                                        ; =>  This Inner Loop Header: Depth=2
	s_add_i32 s94, s94, 1
	s_cmpk_lg_i32 s94, 0x2710
	s_cselect_b64 s[88:89], -1, 0
	s_and_b64 vcc, exec, s[88:89]
	s_cbranch_vccz .LBB6_290
; %bb.289:                              ;   in Loop: Header=BB6_288 Depth=2
	s_mov_b64 s[92:93], -1
	s_or_b64 s[78:79], s[78:79], exec
	s_and_saveexec_b64 s[90:91], s[88:89]
	s_cbranch_execz .LBB6_287
	s_branch .LBB6_291
.LBB6_290:                              ;   in Loop: Header=BB6_288 Depth=2
	s_trap 2
	ds_read_b64 v[10:11], v0
	s_andn2_b64 s[88:89], s[88:89], exec
	s_mov_b32 s94, 0
	s_waitcnt lgkmcnt(0)
	flat_load_dword v3, v[10:11] glc
	s_waitcnt vmcnt(0) lgkmcnt(0)
	buffer_wbinvl1_vol
	v_cmp_eq_u32_e32 vcc, 0, v3
	s_and_b64 s[90:91], vcc, exec
	s_or_b64 s[88:89], s[88:89], s[90:91]
	s_mov_b64 s[92:93], -1
	s_or_b64 s[78:79], s[78:79], exec
	s_and_saveexec_b64 s[90:91], s[88:89]
	s_cbranch_execz .LBB6_287
.LBB6_291:                              ;   in Loop: Header=BB6_288 Depth=2
	s_sleep 1
	s_trap 2
	ds_read_b64 v[10:11], v0
	s_waitcnt lgkmcnt(0)
	s_andn2_b64 s[78:79], s[78:79], exec
	v_cmp_ge_u64_e32 vcc, v[10:11], v[26:27]
	s_orn2_b64 s[92:93], vcc, exec
	s_branch .LBB6_287
.LBB6_292:                              ;   in Loop: Header=BB6_49 Depth=1
	s_or_b64 exec, exec, s[74:75]
	s_and_saveexec_b64 s[74:75], s[76:77]
	s_xor_b64 s[74:75], exec, s[74:75]
	s_cbranch_execz .LBB6_294
; %bb.293:                              ;   in Loop: Header=BB6_49 Depth=1
	v_mov_b32_e32 v3, 1
	ds_write_b32 v0, v3
	s_trap 2
.LBB6_294:                              ;   in Loop: Header=BB6_49 Depth=1
	s_or_b64 exec, exec, s[72:73]
	;;#ASMSTART
	s_wakeup
	;;#ASMEND
.LBB6_295:                              ;   in Loop: Header=BB6_49 Depth=1
	s_or_b64 exec, exec, s[62:63]
.LBB6_296:                              ;   in Loop: Header=BB6_49 Depth=1
	s_andn2_saveexec_b64 s[60:61], s[60:61]
	s_cbranch_execz .LBB6_298
; %bb.297:                              ;   in Loop: Header=BB6_49 Depth=1
	s_waitcnt vmcnt(0) lgkmcnt(0)
	buffer_wbinvl1_vol
	s_barrier
.LBB6_298:                              ;   in Loop: Header=BB6_49 Depth=1
	s_or_b64 exec, exec, s[60:61]
.LBB6_299:                              ;   in Loop: Header=BB6_49 Depth=1
	s_or_b64 exec, exec, s[58:59]
	v_and_b32_e32 v3, 16, v60
	v_cmp_ne_u32_e32 vcc, 0, v3
	s_and_b64 s[58:59], vcc, s[20:21]
	s_and_saveexec_b64 s[20:21], s[58:59]
	s_cbranch_execz .LBB6_301
; %bb.300:                              ;   in Loop: Header=BB6_49 Depth=1
	s_waitcnt vmcnt(0) lgkmcnt(0)
	buffer_wbinvl1_vol
.LBB6_301:                              ;   in Loop: Header=BB6_49 Depth=1
	s_or_b64 exec, exec, s[20:21]
	v_cmp_ne_u32_e32 vcc, 0, v3
	s_xor_b64 s[20:21], s[18:19], -1
	s_and_b64 s[58:59], vcc, s[20:21]
	s_and_saveexec_b64 s[20:21], s[58:59]
	s_cbranch_execz .LBB6_303
; %bb.302:                              ;   in Loop: Header=BB6_49 Depth=1
	buffer_load_dword v10, off, s[0:3], s33 offset:68 ; 4-byte Folded Reload
	buffer_load_dword v11, off, s[0:3], s33 offset:72 ; 4-byte Folded Reload
	v_mov_b32_e32 v3, 1
	s_waitcnt vmcnt(0)
	flat_store_dword v[10:11], v3
.LBB6_303:                              ;   in Loop: Header=BB6_49 Depth=1
	s_or_b64 exec, exec, s[20:21]
	v_and_b32_e32 v3, 48, v60
	v_cmp_ne_u32_e32 vcc, 0, v3
	s_and_saveexec_b64 s[20:21], vcc
	s_cbranch_execz .LBB6_305
; %bb.304:                              ;   in Loop: Header=BB6_49 Depth=1
	v_add_co_u32_e32 v8, vcc, 1, v8
	v_addc_co_u32_e32 v9, vcc, 0, v9, vcc
	flat_store_dwordx2 v[32:33], v[8:9]
.LBB6_305:                              ;   in Loop: Header=BB6_49 Depth=1
	s_or_b64 exec, exec, s[20:21]
	v_mov_b32_e32 v3, v31
.LBB6_306:                              ;   in Loop: Header=BB6_49 Depth=1
	s_or_b64 exec, exec, s[56:57]
	s_and_saveexec_b64 s[56:57], s[46:47]
	s_cbranch_execz .LBB6_48
; %bb.307:                              ;   in Loop: Header=BB6_49 Depth=1
	v_sub_u32_e32 v3, v40, v3
	v_min_i32_e32 v10, v31, v3
	v_and_b32_e32 v3, 12, v60
	v_cmp_ne_u32_e32 vcc, 0, v3
	s_and_saveexec_b64 s[46:47], vcc
	s_cbranch_execz .LBB6_333
; %bb.308:                              ;   in Loop: Header=BB6_49 Depth=1
	v_and_b32_e32 v3, 8, v60
	s_waitcnt vmcnt(0)
	v_add_co_u32_e32 v14, vcc, v38, v3
	v_addc_co_u32_e32 v15, vcc, 0, v39, vcc
	s_waitcnt lgkmcnt(0)
	v_add_co_u32_e32 v12, vcc, 1, v8
	v_addc_co_u32_e32 v13, vcc, 0, v9, vcc
	v_cmp_lt_u64_e32 vcc, v[14:15], v[12:13]
	s_and_saveexec_b64 s[58:59], vcc
	s_cbranch_execz .LBB6_320
; %bb.309:                              ;   in Loop: Header=BB6_49 Depth=1
	v_and_b32_e32 v9, 64, v60
	s_mov_b32 s94, 0
	v_cmp_eq_u32_e32 vcc, 0, v9
	s_mov_b64 s[60:61], 0
                                        ; implicit-def: $sgpr62_sgpr63
                                        ; implicit-def: $sgpr72_sgpr73
                                        ; implicit-def: $sgpr74_sgpr75
	s_branch .LBB6_313
.LBB6_310:                              ;   in Loop: Header=BB6_313 Depth=2
	s_waitcnt vmcnt(0) lgkmcnt(0)
	v_add_co_u32_e64 v14, s[20:21], v38, v3
	v_addc_co_u32_e64 v15, s[20:21], 0, v39, s[20:21]
	v_cmp_ge_u64_e64 s[20:21], v[14:15], v[12:13]
	s_or_b64 s[88:89], s[88:89], exec
	s_orn2_b64 s[78:79], s[20:21], exec
.LBB6_311:                              ;   in Loop: Header=BB6_313 Depth=2
	s_or_b64 exec, exec, s[92:93]
	s_andn2_b64 s[20:21], s[74:75], exec
	s_and_b64 s[74:75], s[88:89], exec
	s_or_b64 s[74:75], s[20:21], s[74:75]
	s_andn2_b64 s[20:21], s[72:73], exec
	s_and_b64 s[72:73], s[78:79], exec
	s_or_b64 s[72:73], s[20:21], s[72:73]
.LBB6_312:                              ;   in Loop: Header=BB6_313 Depth=2
	s_or_b64 exec, exec, s[76:77]
	s_and_b64 s[20:21], exec, s[72:73]
	s_or_b64 s[60:61], s[20:21], s[60:61]
	s_andn2_b64 s[20:21], s[62:63], exec
	s_and_b64 s[62:63], s[74:75], exec
	s_or_b64 s[62:63], s[20:21], s[62:63]
	s_andn2_b64 exec, exec, s[60:61]
	s_cbranch_execz .LBB6_317
.LBB6_313:                              ;   Parent Loop BB6_49 Depth=1
                                        ; =>  This Inner Loop Header: Depth=2
	s_sleep 1
	s_waitcnt vmcnt(0) lgkmcnt(0)
	flat_load_dwordx2 v[38:39], v[32:33] glc
	s_or_b64 s[74:75], s[74:75], exec
	s_or_b64 s[72:73], s[72:73], exec
                                        ; implicit-def: $vgpr9
	s_and_saveexec_b64 s[76:77], vcc
	s_cbranch_execz .LBB6_312
; %bb.314:                              ;   in Loop: Header=BB6_313 Depth=2
	s_cmpk_lt_i32 s94, 0x270f
	s_cselect_b64 s[90:91], -1, 0
	s_cmpk_gt_i32 s94, 0x270e
	s_mov_b64 s[78:79], -1
	s_cbranch_scc0 .LBB6_316
; %bb.315:                              ;   in Loop: Header=BB6_313 Depth=2
	s_trap 2
	ds_read_b64 v[14:15], v0
	s_andn2_b64 s[90:91], s[90:91], exec
	s_mov_b32 s94, 0
	s_mov_b64 s[88:89], 0
	s_waitcnt vmcnt(0) lgkmcnt(0)
	flat_load_dword v9, v[14:15] glc
	s_waitcnt vmcnt(0) lgkmcnt(0)
	buffer_wbinvl1_vol
	v_cmp_eq_u32_e64 s[20:21], 0, v9
	s_and_b64 s[20:21], s[20:21], exec
	s_or_b64 s[90:91], s[90:91], s[20:21]
	s_and_saveexec_b64 s[92:93], s[90:91]
	s_cbranch_execz .LBB6_311
	s_branch .LBB6_310
.LBB6_316:                              ;   in Loop: Header=BB6_313 Depth=2
	s_add_i32 s94, s94, 1
	s_mov_b64 s[88:89], -1
                                        ; implicit-def: $vgpr9
	s_and_saveexec_b64 s[92:93], s[90:91]
	s_cbranch_execz .LBB6_311
	s_branch .LBB6_310
.LBB6_317:                              ;   in Loop: Header=BB6_49 Depth=1
	s_or_b64 exec, exec, s[60:61]
	s_xor_b64 s[20:21], s[62:63], -1
	s_and_saveexec_b64 s[60:61], s[20:21]
	s_xor_b64 s[20:21], exec, s[60:61]
	s_cbranch_execz .LBB6_319
; %bb.318:                              ;   in Loop: Header=BB6_49 Depth=1
	v_or_b32_e32 v60, 64, v60
	s_waitcnt lgkmcnt(0)
	ds_write_b32 v0, v9
	s_trap 2
.LBB6_319:                              ;   in Loop: Header=BB6_49 Depth=1
	s_or_b64 exec, exec, s[20:21]
.LBB6_320:                              ;   in Loop: Header=BB6_49 Depth=1
	s_or_b64 exec, exec, s[58:59]
	v_and_b32_e32 v9, 0x108, v60
	v_cmp_ne_u32_e32 vcc, s34, v9
	v_and_b32_e32 v16, 7, v8
	;;#ASMSTART
	s_wakeup
	;;#ASMEND
	s_and_saveexec_b64 s[20:21], vcc
	s_xor_b64 s[20:21], exec, s[20:21]
                                        ; implicit-def: $vgpr11
; %bb.321:                              ;   in Loop: Header=BB6_49 Depth=1
	v_mov_b32_e32 v11, v52
; %bb.322:                              ;   in Loop: Header=BB6_49 Depth=1
	s_andn2_saveexec_b64 s[20:21], s[20:21]
	s_cbranch_execz .LBB6_324
; %bb.323:                              ;   in Loop: Header=BB6_49 Depth=1
	v_mad_u64_u32 v[8:9], s[58:59], v16, 24, v[6:7]
	v_ashrrev_i32_e32 v11, 31, v10
	v_lshlrev_b64 v[14:15], 1, v[10:11]
	v_mov_b32_e32 v11, v52
	flat_store_dwordx2 v[8:9], v[14:15] offset:8
.LBB6_324:                              ;   in Loop: Header=BB6_49 Depth=1
	s_or_b64 exec, exec, s[20:21]
	v_and_b32_e32 v8, 0x100, v60
	v_cmp_ne_u32_e32 vcc, 0, v8
	s_mov_b64 s[20:21], -1
                                        ; implicit-def: $vgpr8_vgpr9
	s_and_saveexec_b64 s[58:59], vcc
	s_cbranch_execz .LBB6_328
; %bb.325:                              ;   in Loop: Header=BB6_49 Depth=1
	v_mad_u64_u32 v[14:15], s[20:21], v16, 24, v[6:7]
	v_mov_b32_e32 v8, v15
	v_mad_u64_u32 v[8:9], s[20:21], v11, 24, v[8:9]
	v_mov_b32_e32 v15, v8
	flat_load_dword v8, v[14:15]
	s_waitcnt vmcnt(0) lgkmcnt(0)
	v_cmp_ne_u32_e32 vcc, 1, v8
	v_cmp_eq_u32_e64 s[20:21], 1, v8
                                        ; implicit-def: $vgpr8_vgpr9
	s_and_saveexec_b64 s[60:61], s[20:21]
	s_cbranch_execz .LBB6_327
; %bb.326:                              ;   in Loop: Header=BB6_49 Depth=1
	flat_load_dword v8, v[14:15] offset:4 glc
	s_waitcnt vmcnt(0) lgkmcnt(0)
	v_ashrrev_i32_e32 v9, 31, v8
	v_lshrrev_b64 v[8:9], 1, v[8:9]
.LBB6_327:                              ;   in Loop: Header=BB6_49 Depth=1
	s_or_b64 exec, exec, s[60:61]
	s_orn2_b64 s[20:21], vcc, exec
.LBB6_328:                              ;   in Loop: Header=BB6_49 Depth=1
	s_or_b64 exec, exec, s[58:59]
	s_and_saveexec_b64 s[58:59], s[20:21]
	s_cbranch_execz .LBB6_330
; %bb.329:                              ;   in Loop: Header=BB6_49 Depth=1
	v_mul_lo_u32 v11, v11, v57
	v_mul_lo_u32 v14, v16, v21
	v_mad_u64_u32 v[8:9], s[20:21], v16, v57, 0
	v_add3_u32 v9, v9, v14, v11
.LBB6_330:                              ;   in Loop: Header=BB6_49 Depth=1
	s_or_b64 exec, exec, s[58:59]
	v_lshlrev_b64 v[8:9], 1, v[8:9]
	v_cmp_eq_u32_e32 vcc, 0, v3
	v_mov_b32_e32 v3, 0xc8
	v_mov_b32_e32 v11, 0x90
	v_cndmask_b32_e32 v3, v3, v11, vcc
	v_add_co_u32_e32 v8, vcc, v0, v8
	v_addc_co_u32_e32 v9, vcc, v1, v9, vcc
	v_add_u32_e32 v3, v0, v3
	ds_write_b64 v3, v[8:9] offset:584
	v_and_b32_e32 v3, 0x2000, v60
	v_cmp_ne_u32_e32 vcc, 0, v3
	s_and_saveexec_b64 s[20:21], vcc
	s_cbranch_execz .LBB6_332
; %bb.331:                              ;   in Loop: Header=BB6_49 Depth=1
	ds_read_b64 v[8:9], v0 offset:872
	s_waitcnt lgkmcnt(0)
	v_add_co_u32_e32 v8, vcc, 1, v8
	v_addc_co_u32_e32 v9, vcc, 0, v9, vcc
	ds_write_b64 v0, v[8:9] offset:872
.LBB6_332:                              ;   in Loop: Header=BB6_49 Depth=1
	s_or_b64 exec, exec, s[20:21]
	v_mov_b32_e32 v8, v12
	v_mov_b32_e32 v9, v13
.LBB6_333:                              ;   in Loop: Header=BB6_49 Depth=1
	s_or_b64 exec, exec, s[46:47]
	s_and_saveexec_b64 s[20:21], s[10:11]
	s_cbranch_execz .LBB6_352
; %bb.334:                              ;   in Loop: Header=BB6_49 Depth=1
	s_and_saveexec_b64 s[46:47], s[40:41]
	s_xor_b64 s[46:47], exec, s[46:47]
	s_cbranch_execz .LBB6_349
; %bb.335:                              ;   in Loop: Header=BB6_49 Depth=1
	s_and_saveexec_b64 s[58:59], s[12:13]
	s_cbranch_execz .LBB6_348
; %bb.336:                              ;   in Loop: Header=BB6_49 Depth=1
	s_mov_b64 s[62:63], exec
	v_mbcnt_lo_u32_b32 v3, s62, 0
	v_mbcnt_hi_u32_b32 v3, s63, v3
	v_cmp_eq_u32_e32 vcc, 0, v3
	s_waitcnt vmcnt(0) lgkmcnt(0)
	buffer_wbinvl1_vol
	s_and_saveexec_b64 s[60:61], vcc
	s_cbranch_execz .LBB6_338
; %bb.337:                              ;   in Loop: Header=BB6_49 Depth=1
	s_bcnt1_i32_b64 s62, s[62:63]
	v_mov_b32_e32 v11, s62
	v_mov_b32_e32 v12, v52
	ds_add_u64 v0, v[11:12]
	s_trap 2
.LBB6_338:                              ;   in Loop: Header=BB6_49 Depth=1
	s_or_b64 exec, exec, s[60:61]
	s_trap 2
	ds_read_b64 v[11:12], v0
	s_waitcnt lgkmcnt(0)
	v_add_co_u32_e32 v26, vcc, v26, v62
	v_addc_co_u32_e32 v27, vcc, 0, v27, vcc
	v_cmp_lt_u64_e32 vcc, v[11:12], v[26:27]
	s_and_saveexec_b64 s[60:61], vcc
	s_cbranch_execz .LBB6_347
; %bb.339:                              ;   in Loop: Header=BB6_49 Depth=1
	s_mov_b32 s90, 0
	s_mov_b64 s[62:63], 0
                                        ; implicit-def: $sgpr72_sgpr73
                                        ; implicit-def: $sgpr74_sgpr75
	s_branch .LBB6_341
.LBB6_340:                              ;   in Loop: Header=BB6_341 Depth=2
	s_or_b64 exec, exec, s[78:79]
	s_and_b64 s[76:77], exec, s[88:89]
	s_or_b64 s[62:63], s[76:77], s[62:63]
	s_andn2_b64 s[72:73], s[72:73], exec
	s_and_b64 s[76:77], s[74:75], exec
	s_or_b64 s[72:73], s[72:73], s[76:77]
	s_andn2_b64 exec, exec, s[62:63]
	s_cbranch_execz .LBB6_345
.LBB6_341:                              ;   Parent Loop BB6_49 Depth=1
                                        ; =>  This Inner Loop Header: Depth=2
	s_add_i32 s90, s90, 1
	s_cmpk_lg_i32 s90, 0x2710
	s_cselect_b64 s[76:77], -1, 0
	s_and_b64 vcc, exec, s[76:77]
	s_cbranch_vccz .LBB6_343
; %bb.342:                              ;   in Loop: Header=BB6_341 Depth=2
	s_mov_b64 s[88:89], -1
	s_or_b64 s[74:75], s[74:75], exec
	s_and_saveexec_b64 s[78:79], s[76:77]
	s_cbranch_execz .LBB6_340
	s_branch .LBB6_344
.LBB6_343:                              ;   in Loop: Header=BB6_341 Depth=2
	s_trap 2
	ds_read_b64 v[11:12], v0
	s_andn2_b64 s[76:77], s[76:77], exec
	s_mov_b32 s90, 0
	s_waitcnt lgkmcnt(0)
	flat_load_dword v3, v[11:12] glc
	s_waitcnt vmcnt(0) lgkmcnt(0)
	buffer_wbinvl1_vol
	v_cmp_eq_u32_e32 vcc, 0, v3
	s_and_b64 s[78:79], vcc, exec
	s_or_b64 s[76:77], s[76:77], s[78:79]
	s_mov_b64 s[88:89], -1
	s_or_b64 s[74:75], s[74:75], exec
	s_and_saveexec_b64 s[78:79], s[76:77]
	s_cbranch_execz .LBB6_340
.LBB6_344:                              ;   in Loop: Header=BB6_341 Depth=2
	s_sleep 1
	s_trap 2
	ds_read_b64 v[11:12], v0
	s_waitcnt lgkmcnt(0)
	s_andn2_b64 s[74:75], s[74:75], exec
	v_cmp_ge_u64_e32 vcc, v[11:12], v[26:27]
	s_orn2_b64 s[88:89], vcc, exec
	s_branch .LBB6_340
.LBB6_345:                              ;   in Loop: Header=BB6_49 Depth=1
	s_or_b64 exec, exec, s[62:63]
	s_and_saveexec_b64 s[62:63], s[72:73]
	s_xor_b64 s[62:63], exec, s[62:63]
	s_cbranch_execz .LBB6_347
; %bb.346:                              ;   in Loop: Header=BB6_49 Depth=1
	v_mov_b32_e32 v3, 1
	ds_write_b32 v0, v3
	s_trap 2
.LBB6_347:                              ;   in Loop: Header=BB6_49 Depth=1
	s_or_b64 exec, exec, s[60:61]
	;;#ASMSTART
	s_wakeup
	;;#ASMEND
.LBB6_348:                              ;   in Loop: Header=BB6_49 Depth=1
	s_or_b64 exec, exec, s[58:59]
.LBB6_349:                              ;   in Loop: Header=BB6_49 Depth=1
	s_andn2_saveexec_b64 s[46:47], s[46:47]
	s_cbranch_execz .LBB6_351
; %bb.350:                              ;   in Loop: Header=BB6_49 Depth=1
	s_waitcnt vmcnt(0) lgkmcnt(0)
	buffer_wbinvl1_vol
	s_barrier
.LBB6_351:                              ;   in Loop: Header=BB6_49 Depth=1
	s_or_b64 exec, exec, s[46:47]
.LBB6_352:                              ;   in Loop: Header=BB6_49 Depth=1
	s_or_b64 exec, exec, s[20:21]
	s_trap 2
	s_waitcnt lgkmcnt(0)
	ds_read_b32 v11, v0
	v_cmp_lt_i32_e32 vcc, 0, v10
	v_and_b32_e32 v3, 16, v60
	s_waitcnt lgkmcnt(0)
	v_readfirstlane_b32 s20, v11
	s_cmp_eq_u32 s20, 0
	s_cselect_b64 s[20:21], -1, 0
	s_and_b64 s[20:21], vcc, s[20:21]
	v_cmp_ne_u32_e32 vcc, 0, v3
	s_and_b64 s[46:47], vcc, s[20:21]
	s_and_saveexec_b64 s[20:21], s[46:47]
	s_cbranch_execz .LBB6_354
; %bb.353:                              ;   in Loop: Header=BB6_49 Depth=1
	s_waitcnt vmcnt(0)
	buffer_wbinvl1_vol
.LBB6_354:                              ;   in Loop: Header=BB6_49 Depth=1
	s_or_b64 exec, exec, s[20:21]
	v_cmp_ne_u32_e32 vcc, 0, v3
	s_xor_b64 s[20:21], s[18:19], -1
	s_and_b64 s[46:47], vcc, s[20:21]
	s_and_saveexec_b64 s[20:21], s[46:47]
	s_cbranch_execz .LBB6_356
; %bb.355:                              ;   in Loop: Header=BB6_49 Depth=1
	buffer_load_dword v10, off, s[0:3], s33 offset:68 ; 4-byte Folded Reload
	buffer_load_dword v11, off, s[0:3], s33 offset:72 ; 4-byte Folded Reload
	v_mov_b32_e32 v3, 1
	s_waitcnt vmcnt(0)
	flat_store_dword v[10:11], v3
.LBB6_356:                              ;   in Loop: Header=BB6_49 Depth=1
	s_or_b64 exec, exec, s[20:21]
	v_and_b32_e32 v3, 48, v60
	v_cmp_ne_u32_e32 vcc, 0, v3
	s_and_saveexec_b64 s[20:21], vcc
	s_cbranch_execz .LBB6_47
; %bb.357:                              ;   in Loop: Header=BB6_49 Depth=1
	v_add_co_u32_e32 v8, vcc, 1, v8
	v_addc_co_u32_e32 v9, vcc, 0, v9, vcc
	flat_store_dwordx2 v[32:33], v[8:9]
	s_branch .LBB6_47
.LBB6_358:
	s_or_b64 exec, exec, s[42:43]
	buffer_load_dword v47, off, s[0:3], s33 offset:116 ; 4-byte Folded Reload
	buffer_load_dword v31, off, s[0:3], s33 offset:112 ; 4-byte Folded Reload
	;; [unrolled: 1-line block ×5, first 2 shown]
.LBB6_359:
	s_or_b64 exec, exec, s[28:29]
                                        ; implicit-def: $vgpr0_vgpr1
                                        ; kill: killed $vgpr0_vgpr1
                                        ; implicit-def: $vgpr34_vgpr35
                                        ; implicit-def: $vgpr57
                                        ; implicit-def: $vgpr38_vgpr39
                                        ; implicit-def: $vgpr32_vgpr33
                                        ; implicit-def: $vgpr49
                                        ; implicit-def: $vgpr24
                                        ; implicit-def: $vgpr4
                                        ; implicit-def: $vgpr0_vgpr1
.LBB6_360:
	s_andn2_saveexec_b64 s[20:21], s[26:27]
	s_cbranch_execz .LBB6_664
; %bb.361:
	v_mov_b32_e32 v26, 0
	v_cmp_ne_u64_e32 vcc, 0, v[34:35]
	v_mov_b32_e32 v27, 0
	s_and_saveexec_b64 s[26:27], vcc
	s_cbranch_execz .LBB6_663
; %bb.362:
	v_ashrrev_i32_e32 v3, 31, v49
	v_lshrrev_b32_e32 v3, 26, v3
	v_add_u32_e32 v3, v49, v3
	v_ashrrev_i32_e32 v46, 6, v3
	v_and_b32_e32 v3, 0xffffffc0, v3
	s_waitcnt vmcnt(0)
	v_sub_u32_e32 v10, v49, v3
	v_lshlrev_b32_e32 v3, 11, v46
	s_lshr_b32 s6, s30, 27
	v_and_b32_e32 v2, 63, v31
	v_lshl_add_u32 v3, v10, 4, v3
	buffer_store_dword v28, off, s[0:3], s33 offset:96 ; 4-byte Folded Spill
	s_nop 0
	buffer_store_dword v29, off, s[0:3], s33 offset:100 ; 4-byte Folded Spill
	s_add_i32 s6, s30, s6
	s_trap 2
	v_cmp_eq_u32_e32 vcc, 64, v47
	v_cmp_eq_u32_e64 s[12:13], 0, v2
	v_lshrrev_b32_e32 v2, 6, v47
	buffer_store_dword v3, off, s[0:3], s33 offset:120 ; 4-byte Folded Spill
	v_ashrrev_i32_e32 v36, 31, v3
	v_lshlrev_b32_e32 v3, 1, v47
	v_mov_b32_e32 v52, 0
	v_mov_b32_e32 v26, 0
	;; [unrolled: 1-line block ×3, first 2 shown]
	s_ashr_i32 s94, s6, 5
	v_cmp_ge_i32_e64 s[6:7], v49, v47
	v_cmp_ne_u32_e64 s[10:11], 64, v47
	v_cmp_ne_u32_sdwa s[28:29], v47, v61 src0_sel:DWORD src1_sel:WORD_0
	v_mov_b32_e32 v51, 0
	v_cmp_le_i32_e64 s[14:15], v10, v24
	v_cmp_gt_i32_e64 s[16:17], 1, v10
	v_lshlrev_b32_e32 v58, 11, v2
	v_lshlrev_b32_e32 v59, 10, v2
	v_and_b32_e32 v62, 0x7f80, v3
	s_mov_b64 s[40:41], 0
	v_mov_b32_e32 v53, 0
	v_mov_b32_e32 v27, 0
	s_xor_b64 s[42:43], vcc, -1
	s_mov_b32 s95, 0x7f800000
	s_movk_i32 s31, 0x7fff
	s_mov_b32 s34, 0xffff0000
	v_mov_b32_e32 v37, v46
	buffer_store_dword v61, off, s[0:3], s33 offset:92 ; 4-byte Folded Spill
	buffer_store_dword v31, off, s[0:3], s33 offset:112 ; 4-byte Folded Spill
	;; [unrolled: 1-line block ×5, first 2 shown]
	s_nop 0
	buffer_store_dword v35, off, s[0:3], s33 offset:80 ; 4-byte Folded Spill
	buffer_store_dword v36, off, s[0:3], s33 offset:84 ; 4-byte Folded Spill
	buffer_store_dword v37, off, s[0:3], s33 offset:88 ; 4-byte Folded Spill
	s_branch .LBB6_365
.LBB6_363:                              ;   in Loop: Header=BB6_365 Depth=1
	s_or_b64 exec, exec, s[18:19]
.LBB6_364:                              ;   in Loop: Header=BB6_365 Depth=1
	s_or_b64 exec, exec, s[46:47]
	v_add_co_u32_e32 v52, vcc, v52, v4
	v_addc_co_u32_e32 v53, vcc, 0, v53, vcc
	v_cmp_ge_u64_e32 vcc, v[52:53], v[34:35]
	s_or_b64 s[40:41], vcc, s[40:41]
	s_andn2_b64 exec, exec, s[40:41]
	s_cbranch_execz .LBB6_662
.LBB6_365:                              ; =>This Loop Header: Depth=1
                                        ;     Child Loop BB6_374 Depth 2
                                        ;     Child Loop BB6_398 Depth 2
	;; [unrolled: 1-line block ×10, first 2 shown]
	v_sub_co_u32_e32 v10, vcc, v34, v52
	v_subb_co_u32_e32 v11, vcc, v35, v53, vcc
	v_cmp_lt_u64_e32 vcc, v[4:5], v[10:11]
	v_mov_b32_e32 v14, 0
	v_cndmask_b32_e64 v55, v11, 0, vcc
	v_cndmask_b32_e32 v54, v10, v4, vcc
	v_cmp_eq_u64_e32 vcc, 0, v[54:55]
	v_add_u32_e32 v3, 15, v54
	v_and_b32_e32 v3, 0x3ffffff0, v3
	s_or_b64 s[44:45], s[6:7], vcc
	v_max_i32_e32 v57, s94, v3
	s_xor_b64 s[18:19], s[44:45], -1
	s_and_saveexec_b64 s[46:47], s[18:19]
	s_cbranch_execz .LBB6_616
; %bb.366:                              ;   in Loop: Header=BB6_365 Depth=1
	s_and_saveexec_b64 s[18:19], s[4:5]
	s_cbranch_execz .LBB6_368
; %bb.367:                              ;   in Loop: Header=BB6_365 Depth=1
	s_trap 2
	s_waitcnt lgkmcnt(0)
	ds_read2_b64 v[10:13], v0 offset1:1
	buffer_load_dword v14, off, s[0:3], s33 offset:60 ; 4-byte Folded Reload
	buffer_load_dword v15, off, s[0:3], s33 offset:64 ; 4-byte Folded Reload
	ds_read_b64 v[16:17], v0
	s_waitcnt vmcnt(0)
	v_add_co_u32_e32 v14, vcc, v52, v14
	s_waitcnt vmcnt(0)
	v_addc_co_u32_e32 v15, vcc, v53, v15, vcc
	v_lshlrev_b64 v[14:15], 1, v[14:15]
	s_waitcnt lgkmcnt(1)
	v_add_co_u32_e32 v10, vcc, v10, v14
	v_addc_co_u32_e32 v11, vcc, v11, v15, vcc
	ds_write_b64 v0, v[10:11]
	v_add_co_u32_e32 v10, vcc, v12, v14
	v_addc_co_u32_e32 v11, vcc, v13, v15, vcc
	s_waitcnt lgkmcnt(1)
	v_add_co_u32_e32 v3, vcc, v16, v14
	ds_write_b64 v0, v[10:11]
	v_addc_co_u32_e32 v10, vcc, v17, v15, vcc
	v_cmp_ne_u64_e32 vcc, 0, v[16:17]
	v_cndmask_b32_e32 v11, 0, v10, vcc
	v_cndmask_b32_e32 v10, 0, v3, vcc
	ds_write_b64 v0, v[10:11]
.LBB6_368:                              ;   in Loop: Header=BB6_365 Depth=1
	s_or_b64 exec, exec, s[18:19]
	v_and_b32_e32 v3, 4, v60
	v_cmp_ne_u32_e32 vcc, 0, v3
	s_and_saveexec_b64 s[56:57], vcc
	s_cbranch_execz .LBB6_390
; %bb.369:                              ;   in Loop: Header=BB6_365 Depth=1
	s_waitcnt lgkmcnt(0)
	v_add_co_u32_e32 v10, vcc, 1, v8
	v_addc_co_u32_e32 v11, vcc, 0, v9, vcc
	s_waitcnt vmcnt(0)
	v_cmp_lt_u64_e32 vcc, v[38:39], v[10:11]
	s_and_saveexec_b64 s[58:59], vcc
	s_cbranch_execz .LBB6_381
; %bb.370:                              ;   in Loop: Header=BB6_365 Depth=1
	v_and_b32_e32 v3, 64, v60
	s_mov_b32 s35, 0
	v_cmp_eq_u32_e32 vcc, 0, v3
	s_mov_b64 s[60:61], 0
                                        ; implicit-def: $sgpr62_sgpr63
                                        ; implicit-def: $sgpr72_sgpr73
                                        ; implicit-def: $sgpr74_sgpr75
	s_branch .LBB6_374
.LBB6_371:                              ;   in Loop: Header=BB6_374 Depth=2
	s_waitcnt vmcnt(0) lgkmcnt(0)
	v_cmp_ge_u64_e64 s[18:19], v[38:39], v[10:11]
	s_or_b64 s[88:89], s[88:89], exec
	s_orn2_b64 s[78:79], s[18:19], exec
.LBB6_372:                              ;   in Loop: Header=BB6_374 Depth=2
	s_or_b64 exec, exec, s[92:93]
	s_andn2_b64 s[18:19], s[74:75], exec
	s_and_b64 s[74:75], s[88:89], exec
	s_or_b64 s[74:75], s[18:19], s[74:75]
	s_andn2_b64 s[18:19], s[72:73], exec
	s_and_b64 s[72:73], s[78:79], exec
	s_or_b64 s[72:73], s[18:19], s[72:73]
.LBB6_373:                              ;   in Loop: Header=BB6_374 Depth=2
	s_or_b64 exec, exec, s[76:77]
	s_and_b64 s[18:19], exec, s[72:73]
	s_or_b64 s[60:61], s[18:19], s[60:61]
	s_andn2_b64 s[18:19], s[62:63], exec
	s_and_b64 s[62:63], s[74:75], exec
	s_or_b64 s[62:63], s[18:19], s[62:63]
	s_andn2_b64 exec, exec, s[60:61]
	s_cbranch_execz .LBB6_378
.LBB6_374:                              ;   Parent Loop BB6_365 Depth=1
                                        ; =>  This Inner Loop Header: Depth=2
	s_sleep 1
	s_waitcnt vmcnt(0) lgkmcnt(0)
	flat_load_dwordx2 v[38:39], v[32:33] glc
	s_or_b64 s[74:75], s[74:75], exec
	s_or_b64 s[72:73], s[72:73], exec
                                        ; implicit-def: $vgpr9
	s_and_saveexec_b64 s[76:77], vcc
	s_cbranch_execz .LBB6_373
; %bb.375:                              ;   in Loop: Header=BB6_374 Depth=2
	s_cmpk_lt_i32 s35, 0x270f
	s_cselect_b64 s[90:91], -1, 0
	s_cmpk_gt_i32 s35, 0x270e
	s_mov_b64 s[78:79], -1
	s_cbranch_scc0 .LBB6_377
; %bb.376:                              ;   in Loop: Header=BB6_374 Depth=2
	s_trap 2
	ds_read_b64 v[12:13], v0
	s_andn2_b64 s[90:91], s[90:91], exec
	s_mov_b32 s35, 0
	s_mov_b64 s[88:89], 0
	s_waitcnt vmcnt(0) lgkmcnt(0)
	flat_load_dword v9, v[12:13] glc
	s_waitcnt vmcnt(0) lgkmcnt(0)
	buffer_wbinvl1_vol
	v_cmp_eq_u32_e64 s[18:19], 0, v9
	s_and_b64 s[18:19], s[18:19], exec
	s_or_b64 s[90:91], s[90:91], s[18:19]
	s_and_saveexec_b64 s[92:93], s[90:91]
	s_cbranch_execz .LBB6_372
	s_branch .LBB6_371
.LBB6_377:                              ;   in Loop: Header=BB6_374 Depth=2
	s_add_i32 s35, s35, 1
	s_mov_b64 s[88:89], -1
                                        ; implicit-def: $vgpr9
	s_and_saveexec_b64 s[92:93], s[90:91]
	s_cbranch_execz .LBB6_372
	s_branch .LBB6_371
.LBB6_378:                              ;   in Loop: Header=BB6_365 Depth=1
	s_or_b64 exec, exec, s[60:61]
	s_xor_b64 s[18:19], s[62:63], -1
	s_and_saveexec_b64 s[60:61], s[18:19]
	s_xor_b64 s[18:19], exec, s[60:61]
	s_cbranch_execz .LBB6_380
; %bb.379:                              ;   in Loop: Header=BB6_365 Depth=1
	v_or_b32_e32 v60, 64, v60
	s_waitcnt lgkmcnt(0)
	ds_write_b32 v0, v9
	s_trap 2
.LBB6_380:                              ;   in Loop: Header=BB6_365 Depth=1
	s_or_b64 exec, exec, s[18:19]
.LBB6_381:                              ;   in Loop: Header=BB6_365 Depth=1
	s_or_b64 exec, exec, s[58:59]
	v_and_b32_e32 v3, 0x100, v60
	v_cmp_ne_u32_e32 vcc, 0, v3
	v_and_b32_e32 v14, 7, v8
	s_mov_b64 s[18:19], -1
	;;#ASMSTART
	s_wakeup
	;;#ASMEND
                                        ; implicit-def: $vgpr8_vgpr9
	s_and_saveexec_b64 s[58:59], vcc
	s_cbranch_execz .LBB6_385
; %bb.382:                              ;   in Loop: Header=BB6_365 Depth=1
	v_mad_u64_u32 v[12:13], s[18:19], v14, 24, v[6:7]
                                        ; implicit-def: $vgpr8_vgpr9
	flat_load_dword v3, v[12:13]
	s_waitcnt vmcnt(0) lgkmcnt(0)
	v_cmp_ne_u32_e32 vcc, 1, v3
	v_cmp_eq_u32_e64 s[18:19], 1, v3
	s_and_saveexec_b64 s[60:61], s[18:19]
	s_cbranch_execz .LBB6_384
; %bb.383:                              ;   in Loop: Header=BB6_365 Depth=1
	flat_load_dword v8, v[12:13] offset:4 glc
	s_waitcnt vmcnt(0) lgkmcnt(0)
	v_ashrrev_i32_e32 v9, 31, v8
	v_lshrrev_b64 v[8:9], 1, v[8:9]
.LBB6_384:                              ;   in Loop: Header=BB6_365 Depth=1
	s_or_b64 exec, exec, s[60:61]
	s_orn2_b64 s[18:19], vcc, exec
.LBB6_385:                              ;   in Loop: Header=BB6_365 Depth=1
	s_or_b64 exec, exec, s[58:59]
	s_and_saveexec_b64 s[58:59], s[18:19]
; %bb.386:                              ;   in Loop: Header=BB6_365 Depth=1
	v_mad_i64_i32 v[8:9], s[18:19], v14, v48, 0
; %bb.387:                              ;   in Loop: Header=BB6_365 Depth=1
	s_or_b64 exec, exec, s[58:59]
	v_lshlrev_b64 v[8:9], 1, v[8:9]
	v_and_b32_e32 v3, 0x2000, v60
	v_add_co_u32_e32 v8, vcc, v0, v8
	v_addc_co_u32_e32 v9, vcc, v1, v9, vcc
	v_cmp_ne_u32_e32 vcc, 0, v3
	ds_write_b64 v0, v[8:9] offset:728
	s_and_saveexec_b64 s[18:19], vcc
	s_cbranch_execz .LBB6_389
; %bb.388:                              ;   in Loop: Header=BB6_365 Depth=1
	ds_read_b64 v[8:9], v0 offset:872
	s_waitcnt lgkmcnt(0)
	v_add_co_u32_e32 v8, vcc, 1, v8
	v_addc_co_u32_e32 v9, vcc, 0, v9, vcc
	ds_write_b64 v0, v[8:9] offset:872
.LBB6_389:                              ;   in Loop: Header=BB6_365 Depth=1
	s_or_b64 exec, exec, s[18:19]
	v_mov_b32_e32 v8, v10
	v_mov_b32_e32 v9, v11
.LBB6_390:                              ;   in Loop: Header=BB6_365 Depth=1
	s_or_b64 exec, exec, s[56:57]
	s_and_saveexec_b64 s[18:19], s[10:11]
	s_cbranch_execz .LBB6_409
; %bb.391:                              ;   in Loop: Header=BB6_365 Depth=1
	s_and_saveexec_b64 s[56:57], s[28:29]
	s_xor_b64 s[56:57], exec, s[56:57]
	s_cbranch_execz .LBB6_406
; %bb.392:                              ;   in Loop: Header=BB6_365 Depth=1
	s_and_saveexec_b64 s[58:59], s[12:13]
	s_cbranch_execz .LBB6_405
; %bb.393:                              ;   in Loop: Header=BB6_365 Depth=1
	s_mov_b64 s[62:63], exec
	v_mbcnt_lo_u32_b32 v3, s62, 0
	v_mbcnt_hi_u32_b32 v3, s63, v3
	v_cmp_eq_u32_e32 vcc, 0, v3
	s_waitcnt vmcnt(0) lgkmcnt(0)
	buffer_wbinvl1_vol
	s_and_saveexec_b64 s[60:61], vcc
	s_cbranch_execz .LBB6_395
; %bb.394:                              ;   in Loop: Header=BB6_365 Depth=1
	s_bcnt1_i32_b64 s62, s[62:63]
	v_mov_b32_e32 v50, s62
	ds_add_u64 v0, v[50:51]
	s_trap 2
.LBB6_395:                              ;   in Loop: Header=BB6_365 Depth=1
	s_or_b64 exec, exec, s[60:61]
	s_trap 2
	ds_read_b64 v[10:11], v0
	s_waitcnt lgkmcnt(0)
	v_add_co_u32_e32 v26, vcc, v26, v2
	v_addc_co_u32_e32 v27, vcc, 0, v27, vcc
	v_cmp_lt_u64_e32 vcc, v[10:11], v[26:27]
	s_and_saveexec_b64 s[60:61], vcc
	s_cbranch_execz .LBB6_404
; %bb.396:                              ;   in Loop: Header=BB6_365 Depth=1
	s_mov_b32 s90, 0
	s_mov_b64 s[62:63], 0
                                        ; implicit-def: $sgpr72_sgpr73
                                        ; implicit-def: $sgpr74_sgpr75
	s_branch .LBB6_398
.LBB6_397:                              ;   in Loop: Header=BB6_398 Depth=2
	s_or_b64 exec, exec, s[78:79]
	s_and_b64 s[76:77], exec, s[88:89]
	s_or_b64 s[62:63], s[76:77], s[62:63]
	s_andn2_b64 s[72:73], s[72:73], exec
	s_and_b64 s[76:77], s[74:75], exec
	s_or_b64 s[72:73], s[72:73], s[76:77]
	s_andn2_b64 exec, exec, s[62:63]
	s_cbranch_execz .LBB6_402
.LBB6_398:                              ;   Parent Loop BB6_365 Depth=1
                                        ; =>  This Inner Loop Header: Depth=2
	s_add_i32 s90, s90, 1
	s_cmpk_lg_i32 s90, 0x2710
	s_cselect_b64 s[76:77], -1, 0
	s_and_b64 vcc, exec, s[76:77]
	s_cbranch_vccz .LBB6_400
; %bb.399:                              ;   in Loop: Header=BB6_398 Depth=2
	s_mov_b64 s[88:89], -1
	s_or_b64 s[74:75], s[74:75], exec
	s_and_saveexec_b64 s[78:79], s[76:77]
	s_cbranch_execz .LBB6_397
	s_branch .LBB6_401
.LBB6_400:                              ;   in Loop: Header=BB6_398 Depth=2
	s_trap 2
	ds_read_b64 v[10:11], v0
	s_andn2_b64 s[76:77], s[76:77], exec
	s_mov_b32 s90, 0
	s_waitcnt lgkmcnt(0)
	flat_load_dword v3, v[10:11] glc
	s_waitcnt vmcnt(0) lgkmcnt(0)
	buffer_wbinvl1_vol
	v_cmp_eq_u32_e32 vcc, 0, v3
	s_and_b64 s[78:79], vcc, exec
	s_or_b64 s[76:77], s[76:77], s[78:79]
	s_mov_b64 s[88:89], -1
	s_or_b64 s[74:75], s[74:75], exec
	s_and_saveexec_b64 s[78:79], s[76:77]
	s_cbranch_execz .LBB6_397
.LBB6_401:                              ;   in Loop: Header=BB6_398 Depth=2
	s_sleep 1
	s_trap 2
	ds_read_b64 v[10:11], v0
	s_waitcnt lgkmcnt(0)
	s_andn2_b64 s[74:75], s[74:75], exec
	v_cmp_ge_u64_e32 vcc, v[10:11], v[26:27]
	s_orn2_b64 s[88:89], vcc, exec
	s_branch .LBB6_397
.LBB6_402:                              ;   in Loop: Header=BB6_365 Depth=1
	s_or_b64 exec, exec, s[62:63]
	s_and_saveexec_b64 s[62:63], s[72:73]
	s_xor_b64 s[62:63], exec, s[62:63]
	s_cbranch_execz .LBB6_404
; %bb.403:                              ;   in Loop: Header=BB6_365 Depth=1
	v_mov_b32_e32 v3, 1
	ds_write_b32 v0, v3
	s_trap 2
.LBB6_404:                              ;   in Loop: Header=BB6_365 Depth=1
	s_or_b64 exec, exec, s[60:61]
	;;#ASMSTART
	s_wakeup
	;;#ASMEND
.LBB6_405:                              ;   in Loop: Header=BB6_365 Depth=1
	s_or_b64 exec, exec, s[58:59]
.LBB6_406:                              ;   in Loop: Header=BB6_365 Depth=1
	s_andn2_saveexec_b64 s[56:57], s[56:57]
	s_cbranch_execz .LBB6_408
; %bb.407:                              ;   in Loop: Header=BB6_365 Depth=1
	s_waitcnt vmcnt(0) lgkmcnt(0)
	buffer_wbinvl1_vol
	s_barrier
.LBB6_408:                              ;   in Loop: Header=BB6_365 Depth=1
	s_or_b64 exec, exec, s[56:57]
.LBB6_409:                              ;   in Loop: Header=BB6_365 Depth=1
	s_or_b64 exec, exec, s[18:19]
	s_trap 2
	s_waitcnt lgkmcnt(0)
	ds_read_b32 v10, v0
	v_and_b32_e32 v3, 0x4000, v60
	v_cmp_ne_u32_e32 vcc, 0, v3
	s_and_b64 s[56:57], s[42:43], vcc
	s_and_saveexec_b64 s[18:19], s[56:57]
	s_cbranch_execz .LBB6_428
; %bb.410:                              ;   in Loop: Header=BB6_365 Depth=1
	s_and_saveexec_b64 s[56:57], s[28:29]
	s_xor_b64 s[56:57], exec, s[56:57]
	s_cbranch_execz .LBB6_425
; %bb.411:                              ;   in Loop: Header=BB6_365 Depth=1
	s_and_saveexec_b64 s[58:59], s[12:13]
	s_cbranch_execz .LBB6_424
; %bb.412:                              ;   in Loop: Header=BB6_365 Depth=1
	s_mov_b64 s[62:63], exec
	v_mbcnt_lo_u32_b32 v3, s62, 0
	v_mbcnt_hi_u32_b32 v3, s63, v3
	v_cmp_eq_u32_e32 vcc, 0, v3
	s_waitcnt vmcnt(0) lgkmcnt(0)
	buffer_wbinvl1_vol
	s_and_saveexec_b64 s[60:61], vcc
	s_cbranch_execz .LBB6_414
; %bb.413:                              ;   in Loop: Header=BB6_365 Depth=1
	s_bcnt1_i32_b64 s62, s[62:63]
	v_mov_b32_e32 v50, s62
	ds_add_u64 v0, v[50:51]
	s_trap 2
.LBB6_414:                              ;   in Loop: Header=BB6_365 Depth=1
	s_or_b64 exec, exec, s[60:61]
	s_trap 2
	ds_read_b64 v[11:12], v0
	s_waitcnt lgkmcnt(0)
	v_add_co_u32_e32 v26, vcc, v26, v2
	v_addc_co_u32_e32 v27, vcc, 0, v27, vcc
	v_cmp_lt_u64_e32 vcc, v[11:12], v[26:27]
	s_and_saveexec_b64 s[60:61], vcc
	s_cbranch_execz .LBB6_423
; %bb.415:                              ;   in Loop: Header=BB6_365 Depth=1
	s_mov_b32 s90, 0
	s_mov_b64 s[62:63], 0
                                        ; implicit-def: $sgpr72_sgpr73
                                        ; implicit-def: $sgpr74_sgpr75
	s_branch .LBB6_417
.LBB6_416:                              ;   in Loop: Header=BB6_417 Depth=2
	s_or_b64 exec, exec, s[78:79]
	s_and_b64 s[76:77], exec, s[88:89]
	s_or_b64 s[62:63], s[76:77], s[62:63]
	s_andn2_b64 s[72:73], s[72:73], exec
	s_and_b64 s[76:77], s[74:75], exec
	s_or_b64 s[72:73], s[72:73], s[76:77]
	s_andn2_b64 exec, exec, s[62:63]
	s_cbranch_execz .LBB6_421
.LBB6_417:                              ;   Parent Loop BB6_365 Depth=1
                                        ; =>  This Inner Loop Header: Depth=2
	s_add_i32 s90, s90, 1
	s_cmpk_lg_i32 s90, 0x2710
	s_cselect_b64 s[76:77], -1, 0
	s_and_b64 vcc, exec, s[76:77]
	s_cbranch_vccz .LBB6_419
; %bb.418:                              ;   in Loop: Header=BB6_417 Depth=2
	s_mov_b64 s[88:89], -1
	s_or_b64 s[74:75], s[74:75], exec
	s_and_saveexec_b64 s[78:79], s[76:77]
	s_cbranch_execz .LBB6_416
	s_branch .LBB6_420
.LBB6_419:                              ;   in Loop: Header=BB6_417 Depth=2
	s_trap 2
	ds_read_b64 v[11:12], v0
	s_andn2_b64 s[76:77], s[76:77], exec
	s_mov_b32 s90, 0
	s_waitcnt lgkmcnt(0)
	flat_load_dword v3, v[11:12] glc
	s_waitcnt vmcnt(0) lgkmcnt(0)
	buffer_wbinvl1_vol
	v_cmp_eq_u32_e32 vcc, 0, v3
	s_and_b64 s[78:79], vcc, exec
	s_or_b64 s[76:77], s[76:77], s[78:79]
	s_mov_b64 s[88:89], -1
	s_or_b64 s[74:75], s[74:75], exec
	s_and_saveexec_b64 s[78:79], s[76:77]
	s_cbranch_execz .LBB6_416
.LBB6_420:                              ;   in Loop: Header=BB6_417 Depth=2
	s_sleep 1
	s_trap 2
	ds_read_b64 v[11:12], v0
	s_waitcnt lgkmcnt(0)
	s_andn2_b64 s[74:75], s[74:75], exec
	v_cmp_ge_u64_e32 vcc, v[11:12], v[26:27]
	s_orn2_b64 s[88:89], vcc, exec
	s_branch .LBB6_416
.LBB6_421:                              ;   in Loop: Header=BB6_365 Depth=1
	s_or_b64 exec, exec, s[62:63]
	s_and_saveexec_b64 s[62:63], s[72:73]
	s_xor_b64 s[62:63], exec, s[62:63]
	s_cbranch_execz .LBB6_423
; %bb.422:                              ;   in Loop: Header=BB6_365 Depth=1
	v_mov_b32_e32 v3, 1
	ds_write_b32 v0, v3
	s_trap 2
.LBB6_423:                              ;   in Loop: Header=BB6_365 Depth=1
	s_or_b64 exec, exec, s[60:61]
	;;#ASMSTART
	s_wakeup
	;;#ASMEND
.LBB6_424:                              ;   in Loop: Header=BB6_365 Depth=1
	s_or_b64 exec, exec, s[58:59]
.LBB6_425:                              ;   in Loop: Header=BB6_365 Depth=1
	s_andn2_saveexec_b64 s[56:57], s[56:57]
	s_cbranch_execz .LBB6_427
; %bb.426:                              ;   in Loop: Header=BB6_365 Depth=1
	s_waitcnt vmcnt(0) lgkmcnt(0)
	buffer_wbinvl1_vol
	s_barrier
.LBB6_427:                              ;   in Loop: Header=BB6_365 Depth=1
	s_or_b64 exec, exec, s[56:57]
.LBB6_428:                              ;   in Loop: Header=BB6_365 Depth=1
	s_or_b64 exec, exec, s[18:19]
	s_trap 2
	ds_read_b64 v[40:41], v0
	v_min_u32_e32 v57, v57, v54
	s_waitcnt lgkmcnt(0)
	v_cmp_eq_u64_e32 vcc, 0, v[40:41]
	s_cbranch_vccnz .LBB6_436
; %bb.429:                              ;   in Loop: Header=BB6_365 Depth=1
	s_trap 2
	ds_read_b64 v[42:43], v0
	s_waitcnt lgkmcnt(0)
	v_cmp_eq_u64_e32 vcc, 0, v[42:43]
	s_cbranch_vccnz .LBB6_437
; %bb.430:                              ;   in Loop: Header=BB6_365 Depth=1
	s_mov_b64 s[18:19], -1
	s_and_saveexec_b64 s[56:57], s[14:15]
	s_cbranch_execz .LBB6_432
; %bb.431:                              ;   in Loop: Header=BB6_365 Depth=1
	ds_read_b32 v3, v0 offset:720
	s_waitcnt lgkmcnt(0)
	v_and_b32_e32 v3, 15, v3
	v_cmp_eq_u32_e32 vcc, 0, v3
	s_orn2_b64 s[18:19], vcc, exec
.LBB6_432:                              ;   in Loop: Header=BB6_365 Depth=1
	s_or_b64 exec, exec, s[56:57]
	s_and_saveexec_b64 s[56:57], s[16:17]
	s_cbranch_execz .LBB6_434
; %bb.433:                              ;   in Loop: Header=BB6_365 Depth=1
	ds_read_b32 v3, v0 offset:784
	s_waitcnt lgkmcnt(0)
	v_and_b32_e32 v3, 15, v3
	v_cmp_eq_u32_e32 vcc, 0, v3
	s_and_b64 s[58:59], s[18:19], vcc
	s_andn2_b64 s[18:19], s[18:19], exec
	s_and_b64 s[58:59], s[58:59], exec
	s_or_b64 s[18:19], s[18:19], s[58:59]
.LBB6_434:                              ;   in Loop: Header=BB6_365 Depth=1
	s_or_b64 exec, exec, s[56:57]
	v_cmp_eq_u32_e32 vcc, 0, v10
	s_xor_b64 s[18:19], s[18:19], -1
	v_cndmask_b32_e32 v50, 0, v57, vcc
	v_cndmask_b32_e64 v3, 0, 1, s[18:19]
	v_lshlrev_b32_e32 v30, 1, v50
	s_mov_b64 s[58:59], -1
	v_cmp_ne_u32_e32 vcc, 0, v3
	v_mov_b32_e32 v16, 0
	s_cbranch_vccz .LBB6_438
; %bb.435:                              ;   in Loop: Header=BB6_365 Depth=1
	v_mov_b32_e32 v17, v49
	v_mov_b32_e32 v10, v46
	s_and_saveexec_b64 s[18:19], s[58:59]
	s_cbranch_execnz .LBB6_547
	s_branch .LBB6_591
.LBB6_436:                              ;   in Loop: Header=BB6_365 Depth=1
	s_mov_b64 s[18:19], 0
	s_and_saveexec_b64 s[56:57], s[10:11]
	s_cbranch_execnz .LBB6_593
	s_branch .LBB6_611
.LBB6_437:                              ;   in Loop: Header=BB6_365 Depth=1
	s_mov_b64 s[18:19], 0
	s_branch .LBB6_592
.LBB6_438:                              ;   in Loop: Header=BB6_365 Depth=1
	v_lshrrev_b32_e32 v28, 10, v50
	v_sub_u32_e32 v31, v28, v46
	v_cmp_lt_i32_e32 vcc, 0, v31
	s_and_saveexec_b64 s[18:19], vcc
	s_cbranch_execz .LBB6_506
; %bb.439:                              ;   in Loop: Header=BB6_365 Depth=1
	s_trap 2
	buffer_load_dword v3, off, s[0:3], s33 offset:120 ; 4-byte Folded Reload
	ds_read_b64 v[10:11], v0
	v_mov_b32_e32 v12, v36
	s_mov_b64 s[56:57], 0
	s_waitcnt vmcnt(0)
	v_add_co_u32_e32 v44, vcc, v40, v3
	v_addc_co_u32_e32 v45, vcc, v41, v12, vcc
	s_waitcnt lgkmcnt(0)
	v_add_co_u32_e32 v46, vcc, v10, v3
	v_addc_co_u32_e32 v47, vcc, v11, v12, vcc
	v_add_co_u32_e32 v55, vcc, v42, v3
	v_addc_co_u32_e32 v56, vcc, v43, v12, vcc
	s_branch .LBB6_441
.LBB6_440:                              ;   in Loop: Header=BB6_441 Depth=2
	s_or_b64 exec, exec, s[58:59]
	v_lshrrev_b32_e32 v3, 16, v22
	v_and_or_b32 v19, v19, s34, v3
	v_lshrrev_b32_e32 v3, 16, v29
	v_and_or_b32 v18, v18, s34, v3
	v_lshrrev_b32_e32 v3, 16, v23
	v_and_or_b32 v20, v20, s34, v3
	v_lshrrev_b32_e32 v3, 16, v24
	v_add_co_u32_e32 v44, vcc, v44, v58
	v_and_or_b32 v21, v21, s34, v3
	v_lshrrev_b32_e32 v3, 16, v14
	v_addc_co_u32_e32 v45, vcc, 0, v45, vcc
	v_and_or_b32 v11, v11, s34, v3
	v_lshrrev_b32_e32 v3, 16, v25
	v_add_co_u32_e32 v46, vcc, v46, v58
	v_and_or_b32 v10, v10, s34, v3
	v_lshrrev_b32_e32 v3, 16, v15
	v_addc_co_u32_e32 v47, vcc, 0, v47, vcc
	v_sub_u32_e32 v31, v31, v2
	v_and_or_b32 v12, v12, s34, v3
	v_lshrrev_b32_e32 v3, 16, v16
	v_cmp_gt_i32_e32 vcc, 1, v31
	v_and_or_b32 v13, v13, s34, v3
	global_store_dwordx4 v[55:56], v[18:21], off glc slc
	global_store_dwordx4 v[55:56], v[10:13], off offset:1024 glc slc
	s_or_b64 s[56:57], vcc, s[56:57]
	v_add_co_u32_e32 v55, vcc, v55, v58
	v_addc_co_u32_e32 v56, vcc, 0, v56, vcc
	s_andn2_b64 exec, exec, s[56:57]
	s_cbranch_execz .LBB6_505
.LBB6_441:                              ;   Parent Loop BB6_365 Depth=1
                                        ; =>  This Inner Loop Header: Depth=2
	global_load_dwordx4 v[18:21], v[44:45], off glc slc
	global_load_dwordx4 v[22:25], v[46:47], off glc slc
	global_load_dwordx4 v[10:13], v[44:45], off offset:1024 glc slc
	global_load_dwordx4 v[14:17], v[46:47], off offset:1024 glc slc
	s_waitcnt vmcnt(3)
	v_lshlrev_b32_e32 v3, 16, v18
	s_waitcnt vmcnt(2)
	v_lshlrev_b32_e32 v29, 16, v22
	v_add_f32_e32 v61, v3, v29
	v_and_b32_e32 v3, 0x7f800000, v61
	v_cmp_ne_u32_e32 vcc, s95, v3
                                        ; implicit-def: $vgpr29
	s_and_saveexec_b64 s[58:59], vcc
	s_xor_b64 s[58:59], exec, s[58:59]
; %bb.442:                              ;   in Loop: Header=BB6_441 Depth=2
	v_bfe_u32 v3, v61, 16, 1
	v_add3_u32 v29, v61, v3, s31
                                        ; implicit-def: $vgpr61
; %bb.443:                              ;   in Loop: Header=BB6_441 Depth=2
	s_andn2_saveexec_b64 s[58:59], s[58:59]
; %bb.444:                              ;   in Loop: Header=BB6_441 Depth=2
	v_or_b32_e32 v3, 0x10000, v61
	v_cmp_eq_u32_sdwa vcc, v61, v51 src0_sel:WORD_0 src1_sel:DWORD
	v_cndmask_b32_e32 v29, v3, v61, vcc
; %bb.445:                              ;   in Loop: Header=BB6_441 Depth=2
	s_or_b64 exec, exec, s[58:59]
	v_and_b32_e32 v3, 0xffff0000, v18
	v_and_b32_e32 v18, 0xffff0000, v22
	v_add_f32_e32 v22, v3, v18
	v_and_b32_e32 v3, 0x7f800000, v22
	v_cmp_ne_u32_e32 vcc, s95, v3
                                        ; implicit-def: $vgpr18
	s_and_saveexec_b64 s[58:59], vcc
	s_xor_b64 s[58:59], exec, s[58:59]
; %bb.446:                              ;   in Loop: Header=BB6_441 Depth=2
	v_bfe_u32 v3, v22, 16, 1
	v_add3_u32 v18, v22, v3, s31
                                        ; implicit-def: $vgpr22
; %bb.447:                              ;   in Loop: Header=BB6_441 Depth=2
	s_andn2_saveexec_b64 s[58:59], s[58:59]
; %bb.448:                              ;   in Loop: Header=BB6_441 Depth=2
	v_or_b32_e32 v3, 0x10000, v22
	v_cmp_eq_u32_sdwa vcc, v22, v51 src0_sel:WORD_0 src1_sel:DWORD
	v_cndmask_b32_e32 v18, v3, v22, vcc
; %bb.449:                              ;   in Loop: Header=BB6_441 Depth=2
	s_or_b64 exec, exec, s[58:59]
	v_lshlrev_b32_e32 v3, 16, v19
	v_lshlrev_b32_e32 v22, 16, v23
	v_add_f32_e32 v61, v3, v22
	v_and_b32_e32 v3, 0x7f800000, v61
	v_cmp_ne_u32_e32 vcc, s95, v3
                                        ; implicit-def: $vgpr22
	s_and_saveexec_b64 s[58:59], vcc
	s_xor_b64 s[58:59], exec, s[58:59]
; %bb.450:                              ;   in Loop: Header=BB6_441 Depth=2
	v_bfe_u32 v3, v61, 16, 1
	v_add3_u32 v22, v61, v3, s31
                                        ; implicit-def: $vgpr61
; %bb.451:                              ;   in Loop: Header=BB6_441 Depth=2
	s_andn2_saveexec_b64 s[58:59], s[58:59]
; %bb.452:                              ;   in Loop: Header=BB6_441 Depth=2
	v_or_b32_e32 v3, 0x10000, v61
	v_cmp_eq_u32_sdwa vcc, v61, v51 src0_sel:WORD_0 src1_sel:DWORD
	v_cndmask_b32_e32 v22, v3, v61, vcc
; %bb.453:                              ;   in Loop: Header=BB6_441 Depth=2
	s_or_b64 exec, exec, s[58:59]
	v_and_b32_e32 v3, 0xffff0000, v19
	v_and_b32_e32 v19, 0xffff0000, v23
	v_add_f32_e32 v23, v3, v19
	v_and_b32_e32 v3, 0x7f800000, v23
	v_cmp_ne_u32_e32 vcc, s95, v3
                                        ; implicit-def: $vgpr19
	s_and_saveexec_b64 s[58:59], vcc
	s_xor_b64 s[58:59], exec, s[58:59]
; %bb.454:                              ;   in Loop: Header=BB6_441 Depth=2
	v_bfe_u32 v3, v23, 16, 1
	v_add3_u32 v19, v23, v3, s31
                                        ; implicit-def: $vgpr23
; %bb.455:                              ;   in Loop: Header=BB6_441 Depth=2
	s_andn2_saveexec_b64 s[58:59], s[58:59]
; %bb.456:                              ;   in Loop: Header=BB6_441 Depth=2
	v_or_b32_e32 v3, 0x10000, v23
	v_cmp_eq_u32_sdwa vcc, v23, v51 src0_sel:WORD_0 src1_sel:DWORD
	v_cndmask_b32_e32 v19, v3, v23, vcc
; %bb.457:                              ;   in Loop: Header=BB6_441 Depth=2
	s_or_b64 exec, exec, s[58:59]
	v_lshlrev_b32_e32 v3, 16, v20
	v_lshlrev_b32_e32 v23, 16, v24
	v_add_f32_e32 v61, v3, v23
	v_and_b32_e32 v3, 0x7f800000, v61
	v_cmp_ne_u32_e32 vcc, s95, v3
                                        ; implicit-def: $vgpr23
	s_and_saveexec_b64 s[58:59], vcc
	s_xor_b64 s[58:59], exec, s[58:59]
; %bb.458:                              ;   in Loop: Header=BB6_441 Depth=2
	v_bfe_u32 v3, v61, 16, 1
	v_add3_u32 v23, v61, v3, s31
                                        ; implicit-def: $vgpr61
; %bb.459:                              ;   in Loop: Header=BB6_441 Depth=2
	s_andn2_saveexec_b64 s[58:59], s[58:59]
; %bb.460:                              ;   in Loop: Header=BB6_441 Depth=2
	v_or_b32_e32 v3, 0x10000, v61
	v_cmp_eq_u32_sdwa vcc, v61, v51 src0_sel:WORD_0 src1_sel:DWORD
	v_cndmask_b32_e32 v23, v3, v61, vcc
; %bb.461:                              ;   in Loop: Header=BB6_441 Depth=2
	s_or_b64 exec, exec, s[58:59]
	v_and_b32_e32 v3, 0xffff0000, v20
	v_and_b32_e32 v20, 0xffff0000, v24
	v_add_f32_e32 v24, v3, v20
	v_and_b32_e32 v3, 0x7f800000, v24
	v_cmp_ne_u32_e32 vcc, s95, v3
                                        ; implicit-def: $vgpr20
	s_and_saveexec_b64 s[58:59], vcc
	s_xor_b64 s[58:59], exec, s[58:59]
; %bb.462:                              ;   in Loop: Header=BB6_441 Depth=2
	v_bfe_u32 v3, v24, 16, 1
	v_add3_u32 v20, v24, v3, s31
                                        ; implicit-def: $vgpr24
; %bb.463:                              ;   in Loop: Header=BB6_441 Depth=2
	s_andn2_saveexec_b64 s[58:59], s[58:59]
; %bb.464:                              ;   in Loop: Header=BB6_441 Depth=2
	v_or_b32_e32 v3, 0x10000, v24
	v_cmp_eq_u32_sdwa vcc, v24, v51 src0_sel:WORD_0 src1_sel:DWORD
	v_cndmask_b32_e32 v20, v3, v24, vcc
; %bb.465:                              ;   in Loop: Header=BB6_441 Depth=2
	s_or_b64 exec, exec, s[58:59]
	v_lshlrev_b32_e32 v3, 16, v21
	v_lshlrev_b32_e32 v24, 16, v25
	v_add_f32_e32 v61, v3, v24
	v_and_b32_e32 v3, 0x7f800000, v61
	v_cmp_ne_u32_e32 vcc, s95, v3
                                        ; implicit-def: $vgpr24
	s_and_saveexec_b64 s[58:59], vcc
	s_xor_b64 s[58:59], exec, s[58:59]
; %bb.466:                              ;   in Loop: Header=BB6_441 Depth=2
	v_bfe_u32 v3, v61, 16, 1
	v_add3_u32 v24, v61, v3, s31
                                        ; implicit-def: $vgpr61
; %bb.467:                              ;   in Loop: Header=BB6_441 Depth=2
	s_andn2_saveexec_b64 s[58:59], s[58:59]
; %bb.468:                              ;   in Loop: Header=BB6_441 Depth=2
	v_or_b32_e32 v3, 0x10000, v61
	v_cmp_eq_u32_sdwa vcc, v61, v51 src0_sel:WORD_0 src1_sel:DWORD
	v_cndmask_b32_e32 v24, v3, v61, vcc
; %bb.469:                              ;   in Loop: Header=BB6_441 Depth=2
	s_or_b64 exec, exec, s[58:59]
	v_and_b32_e32 v3, 0xffff0000, v21
	v_and_b32_e32 v21, 0xffff0000, v25
	v_add_f32_e32 v25, v3, v21
	v_and_b32_e32 v3, 0x7f800000, v25
	v_cmp_ne_u32_e32 vcc, s95, v3
                                        ; implicit-def: $vgpr21
	s_and_saveexec_b64 s[58:59], vcc
	s_xor_b64 s[58:59], exec, s[58:59]
; %bb.470:                              ;   in Loop: Header=BB6_441 Depth=2
	v_bfe_u32 v3, v25, 16, 1
	v_add3_u32 v21, v25, v3, s31
                                        ; implicit-def: $vgpr25
; %bb.471:                              ;   in Loop: Header=BB6_441 Depth=2
	s_andn2_saveexec_b64 s[58:59], s[58:59]
; %bb.472:                              ;   in Loop: Header=BB6_441 Depth=2
	v_or_b32_e32 v3, 0x10000, v25
	v_cmp_eq_u32_sdwa vcc, v25, v51 src0_sel:WORD_0 src1_sel:DWORD
	v_cndmask_b32_e32 v21, v3, v25, vcc
; %bb.473:                              ;   in Loop: Header=BB6_441 Depth=2
	s_or_b64 exec, exec, s[58:59]
	s_waitcnt vmcnt(1)
	v_lshlrev_b32_e32 v3, 16, v10
	s_waitcnt vmcnt(0)
	v_lshlrev_b32_e32 v25, 16, v14
	v_add_f32_e32 v61, v3, v25
	v_and_b32_e32 v3, 0x7f800000, v61
	v_cmp_ne_u32_e32 vcc, s95, v3
                                        ; implicit-def: $vgpr25
	s_and_saveexec_b64 s[58:59], vcc
	s_xor_b64 s[58:59], exec, s[58:59]
; %bb.474:                              ;   in Loop: Header=BB6_441 Depth=2
	v_bfe_u32 v3, v61, 16, 1
	v_add3_u32 v25, v61, v3, s31
                                        ; implicit-def: $vgpr61
; %bb.475:                              ;   in Loop: Header=BB6_441 Depth=2
	s_andn2_saveexec_b64 s[58:59], s[58:59]
; %bb.476:                              ;   in Loop: Header=BB6_441 Depth=2
	v_or_b32_e32 v3, 0x10000, v61
	v_cmp_eq_u32_sdwa vcc, v61, v51 src0_sel:WORD_0 src1_sel:DWORD
	v_cndmask_b32_e32 v25, v3, v61, vcc
; %bb.477:                              ;   in Loop: Header=BB6_441 Depth=2
	s_or_b64 exec, exec, s[58:59]
	v_and_b32_e32 v3, 0xffff0000, v10
	v_and_b32_e32 v10, 0xffff0000, v14
	v_add_f32_e32 v14, v3, v10
	v_and_b32_e32 v3, 0x7f800000, v14
	v_cmp_ne_u32_e32 vcc, s95, v3
                                        ; implicit-def: $vgpr10
	s_and_saveexec_b64 s[58:59], vcc
	s_xor_b64 s[58:59], exec, s[58:59]
; %bb.478:                              ;   in Loop: Header=BB6_441 Depth=2
	v_bfe_u32 v3, v14, 16, 1
	v_add3_u32 v10, v14, v3, s31
                                        ; implicit-def: $vgpr14
; %bb.479:                              ;   in Loop: Header=BB6_441 Depth=2
	s_andn2_saveexec_b64 s[58:59], s[58:59]
; %bb.480:                              ;   in Loop: Header=BB6_441 Depth=2
	v_or_b32_e32 v3, 0x10000, v14
	v_cmp_eq_u32_sdwa vcc, v14, v51 src0_sel:WORD_0 src1_sel:DWORD
	v_cndmask_b32_e32 v10, v3, v14, vcc
; %bb.481:                              ;   in Loop: Header=BB6_441 Depth=2
	s_or_b64 exec, exec, s[58:59]
	v_lshlrev_b32_e32 v3, 16, v11
	v_lshlrev_b32_e32 v14, 16, v15
	v_add_f32_e32 v61, v3, v14
	v_and_b32_e32 v3, 0x7f800000, v61
	v_cmp_ne_u32_e32 vcc, s95, v3
                                        ; implicit-def: $vgpr14
	s_and_saveexec_b64 s[58:59], vcc
	s_xor_b64 s[58:59], exec, s[58:59]
; %bb.482:                              ;   in Loop: Header=BB6_441 Depth=2
	v_bfe_u32 v3, v61, 16, 1
	v_add3_u32 v14, v61, v3, s31
                                        ; implicit-def: $vgpr61
; %bb.483:                              ;   in Loop: Header=BB6_441 Depth=2
	s_andn2_saveexec_b64 s[58:59], s[58:59]
; %bb.484:                              ;   in Loop: Header=BB6_441 Depth=2
	v_or_b32_e32 v3, 0x10000, v61
	v_cmp_eq_u32_sdwa vcc, v61, v51 src0_sel:WORD_0 src1_sel:DWORD
	v_cndmask_b32_e32 v14, v3, v61, vcc
; %bb.485:                              ;   in Loop: Header=BB6_441 Depth=2
	s_or_b64 exec, exec, s[58:59]
	v_and_b32_e32 v3, 0xffff0000, v11
	v_and_b32_e32 v11, 0xffff0000, v15
	v_add_f32_e32 v15, v3, v11
	v_and_b32_e32 v3, 0x7f800000, v15
	v_cmp_ne_u32_e32 vcc, s95, v3
                                        ; implicit-def: $vgpr11
	s_and_saveexec_b64 s[58:59], vcc
	s_xor_b64 s[58:59], exec, s[58:59]
; %bb.486:                              ;   in Loop: Header=BB6_441 Depth=2
	v_bfe_u32 v3, v15, 16, 1
	v_add3_u32 v11, v15, v3, s31
                                        ; implicit-def: $vgpr15
; %bb.487:                              ;   in Loop: Header=BB6_441 Depth=2
	s_andn2_saveexec_b64 s[58:59], s[58:59]
; %bb.488:                              ;   in Loop: Header=BB6_441 Depth=2
	v_or_b32_e32 v3, 0x10000, v15
	v_cmp_eq_u32_sdwa vcc, v15, v51 src0_sel:WORD_0 src1_sel:DWORD
	v_cndmask_b32_e32 v11, v3, v15, vcc
; %bb.489:                              ;   in Loop: Header=BB6_441 Depth=2
	s_or_b64 exec, exec, s[58:59]
	v_lshlrev_b32_e32 v3, 16, v12
	v_lshlrev_b32_e32 v15, 16, v16
	v_add_f32_e32 v61, v3, v15
	v_and_b32_e32 v3, 0x7f800000, v61
	v_cmp_ne_u32_e32 vcc, s95, v3
                                        ; implicit-def: $vgpr15
	s_and_saveexec_b64 s[58:59], vcc
	s_xor_b64 s[58:59], exec, s[58:59]
; %bb.490:                              ;   in Loop: Header=BB6_441 Depth=2
	v_bfe_u32 v3, v61, 16, 1
	v_add3_u32 v15, v61, v3, s31
                                        ; implicit-def: $vgpr61
; %bb.491:                              ;   in Loop: Header=BB6_441 Depth=2
	s_andn2_saveexec_b64 s[58:59], s[58:59]
; %bb.492:                              ;   in Loop: Header=BB6_441 Depth=2
	v_or_b32_e32 v3, 0x10000, v61
	v_cmp_eq_u32_sdwa vcc, v61, v51 src0_sel:WORD_0 src1_sel:DWORD
	v_cndmask_b32_e32 v15, v3, v61, vcc
; %bb.493:                              ;   in Loop: Header=BB6_441 Depth=2
	s_or_b64 exec, exec, s[58:59]
	v_and_b32_e32 v3, 0xffff0000, v12
	v_and_b32_e32 v12, 0xffff0000, v16
	v_add_f32_e32 v16, v3, v12
	v_and_b32_e32 v3, 0x7f800000, v16
	v_cmp_ne_u32_e32 vcc, s95, v3
                                        ; implicit-def: $vgpr12
	s_and_saveexec_b64 s[58:59], vcc
	s_xor_b64 s[58:59], exec, s[58:59]
; %bb.494:                              ;   in Loop: Header=BB6_441 Depth=2
	v_bfe_u32 v3, v16, 16, 1
	v_add3_u32 v12, v16, v3, s31
                                        ; implicit-def: $vgpr16
; %bb.495:                              ;   in Loop: Header=BB6_441 Depth=2
	s_andn2_saveexec_b64 s[58:59], s[58:59]
; %bb.496:                              ;   in Loop: Header=BB6_441 Depth=2
	v_or_b32_e32 v3, 0x10000, v16
	v_cmp_eq_u32_sdwa vcc, v16, v51 src0_sel:WORD_0 src1_sel:DWORD
	v_cndmask_b32_e32 v12, v3, v16, vcc
; %bb.497:                              ;   in Loop: Header=BB6_441 Depth=2
	s_or_b64 exec, exec, s[58:59]
	v_lshlrev_b32_e32 v3, 16, v13
	v_lshlrev_b32_e32 v16, 16, v17
	v_add_f32_e32 v61, v3, v16
	v_and_b32_e32 v3, 0x7f800000, v61
	v_cmp_ne_u32_e32 vcc, s95, v3
                                        ; implicit-def: $vgpr16
	s_and_saveexec_b64 s[58:59], vcc
	s_xor_b64 s[58:59], exec, s[58:59]
; %bb.498:                              ;   in Loop: Header=BB6_441 Depth=2
	v_bfe_u32 v3, v61, 16, 1
	v_add3_u32 v16, v61, v3, s31
                                        ; implicit-def: $vgpr61
; %bb.499:                              ;   in Loop: Header=BB6_441 Depth=2
	s_andn2_saveexec_b64 s[58:59], s[58:59]
; %bb.500:                              ;   in Loop: Header=BB6_441 Depth=2
	v_or_b32_e32 v3, 0x10000, v61
	v_cmp_eq_u32_sdwa vcc, v61, v51 src0_sel:WORD_0 src1_sel:DWORD
	v_cndmask_b32_e32 v16, v3, v61, vcc
; %bb.501:                              ;   in Loop: Header=BB6_441 Depth=2
	s_or_b64 exec, exec, s[58:59]
	v_and_b32_e32 v3, 0xffff0000, v13
	v_and_b32_e32 v13, 0xffff0000, v17
	v_add_f32_e32 v17, v3, v13
	v_and_b32_e32 v3, 0x7f800000, v17
	v_cmp_ne_u32_e32 vcc, s95, v3
                                        ; implicit-def: $vgpr13
	s_and_saveexec_b64 s[58:59], vcc
	s_xor_b64 s[58:59], exec, s[58:59]
; %bb.502:                              ;   in Loop: Header=BB6_441 Depth=2
	v_bfe_u32 v3, v17, 16, 1
	v_add3_u32 v13, v17, v3, s31
                                        ; implicit-def: $vgpr17
; %bb.503:                              ;   in Loop: Header=BB6_441 Depth=2
	s_andn2_saveexec_b64 s[58:59], s[58:59]
	s_cbranch_execz .LBB6_440
; %bb.504:                              ;   in Loop: Header=BB6_441 Depth=2
	v_or_b32_e32 v3, 0x10000, v17
	v_cmp_eq_u32_sdwa vcc, v17, v51 src0_sel:WORD_0 src1_sel:DWORD
	v_cndmask_b32_e32 v13, v3, v17, vcc
	s_branch .LBB6_440
.LBB6_505:                              ;   in Loop: Header=BB6_365 Depth=1
	s_or_b64 exec, exec, s[56:57]
	v_mov_b32_e32 v46, v37
.LBB6_506:                              ;   in Loop: Header=BB6_365 Depth=1
	s_or_b64 exec, exec, s[18:19]
	v_lshlrev_b32_e32 v24, 11, v28
	v_cmp_ne_u32_e32 vcc, v30, v24
	s_mov_b64 s[58:59], 0
	v_mov_b32_e32 v16, 0
                                        ; implicit-def: $vgpr17
                                        ; implicit-def: $vgpr10
	s_and_saveexec_b64 s[56:57], vcc
	s_cbranch_execz .LBB6_546
; %bb.507:                              ;   in Loop: Header=BB6_365 Depth=1
	buffer_load_dword v11, off, s[0:3], s33 offset:68 ; 4-byte Folded Reload
	v_lshlrev_b32_e32 v3, 6, v31
	v_sub_u32_e32 v10, v30, v24
	s_waitcnt vmcnt(0)
	v_sub_u32_e32 v3, v11, v3
	v_ashrrev_i32_e32 v11, 31, v3
	v_lshrrev_b32_e32 v11, 26, v11
	v_add_u32_e32 v11, v3, v11
	v_ashrrev_i32_e32 v12, 6, v11
	v_and_b32_e32 v11, 0xffffffc0, v11
	v_sub_u32_e32 v25, v3, v11
	v_ashrrev_i32_e32 v11, 31, v10
	v_lshrrev_b32_e32 v11, 22, v11
	v_add_u32_e32 v11, v10, v11
	v_and_b32_e32 v28, 0xfffffc00, v11
	v_lshlrev_b32_e32 v3, 4, v25
	v_sub_u32_e32 v31, v10, v28
	v_lshl_add_u32 v3, v12, 10, v3
	v_ashrrev_i32_e32 v13, 10, v11
	v_cmp_lt_i32_e32 vcc, 15, v31
	v_sub_u32_e32 v55, v10, v3
	v_addc_co_u32_e64 v10, s[18:19], 0, v13, vcc
	v_sub_u32_e32 v29, v10, v12
	v_cmp_lt_i32_e64 s[18:19], 15, v55
	s_and_saveexec_b64 s[58:59], s[18:19]
	s_cbranch_execz .LBB6_543
; %bb.508:                              ;   in Loop: Header=BB6_365 Depth=1
	s_trap 2
	ds_read_b64 v[10:11], v0
	v_add_u32_e32 v3, v3, v24
	v_ashrrev_i32_e32 v12, 31, v3
	v_add_co_u32_e64 v18, s[18:19], v3, v40
	v_addc_co_u32_e64 v19, s[18:19], v12, v41, s[18:19]
	s_waitcnt lgkmcnt(0)
	v_add_co_u32_e64 v20, s[18:19], v10, v3
	v_addc_co_u32_e64 v21, s[18:19], v11, v12, s[18:19]
	v_add_co_u32_e64 v22, s[18:19], v3, v42
	v_addc_co_u32_e64 v23, s[18:19], v12, v43, s[18:19]
	s_mov_b64 s[60:61], 0
	s_branch .LBB6_510
.LBB6_509:                              ;   in Loop: Header=BB6_510 Depth=2
	s_or_b64 exec, exec, s[62:63]
	v_lshrrev_b32_e32 v3, 16, v14
	v_and_or_b32 v11, v11, s34, v3
	v_lshrrev_b32_e32 v3, 16, v44
	v_add_co_u32_e64 v18, s[18:19], v18, v59
	v_and_or_b32 v10, v10, s34, v3
	v_lshrrev_b32_e32 v3, 16, v15
	v_addc_co_u32_e64 v19, s[18:19], 0, v19, s[18:19]
	v_and_or_b32 v12, v12, s34, v3
	v_lshrrev_b32_e32 v3, 16, v16
	v_add_co_u32_e64 v20, s[18:19], v20, v59
	v_and_or_b32 v13, v13, s34, v3
	v_addc_co_u32_e64 v21, s[18:19], 0, v21, s[18:19]
	global_store_dwordx4 v[22:23], v[10:13], off glc slc
	v_add_co_u32_e64 v22, s[18:19], v22, v59
	v_addc_co_u32_e64 v23, s[18:19], 0, v23, s[18:19]
	v_sub_u32_e32 v55, v55, v59
	v_cmp_gt_i32_e64 s[18:19], 16, v55
	s_or_b64 s[60:61], s[18:19], s[60:61]
	v_sub_u32_e32 v29, v29, v2
	s_andn2_b64 exec, exec, s[60:61]
	s_cbranch_execz .LBB6_542
.LBB6_510:                              ;   Parent Loop BB6_365 Depth=1
                                        ; =>  This Inner Loop Header: Depth=2
	global_load_dwordx4 v[10:13], v[20:21], off glc slc
	global_load_dwordx4 v[14:17], v[18:19], off glc slc
                                        ; implicit-def: $vgpr44
	s_waitcnt vmcnt(1)
	v_lshlrev_b32_e32 v3, 16, v10
	s_waitcnt vmcnt(0)
	v_lshlrev_b32_e32 v34, 16, v14
	v_add_f32_e32 v45, v34, v3
	v_and_b32_e32 v3, 0x7f800000, v45
	v_cmp_ne_u32_e64 s[18:19], s95, v3
	s_and_saveexec_b64 s[62:63], s[18:19]
	s_xor_b64 s[18:19], exec, s[62:63]
; %bb.511:                              ;   in Loop: Header=BB6_510 Depth=2
	v_bfe_u32 v3, v45, 16, 1
	v_add3_u32 v44, v45, v3, s31
                                        ; implicit-def: $vgpr45
; %bb.512:                              ;   in Loop: Header=BB6_510 Depth=2
	s_andn2_saveexec_b64 s[62:63], s[18:19]
; %bb.513:                              ;   in Loop: Header=BB6_510 Depth=2
	v_or_b32_e32 v3, 0x10000, v45
	v_cmp_eq_u32_sdwa s[18:19], v45, v51 src0_sel:WORD_0 src1_sel:DWORD
	v_cndmask_b32_e64 v44, v3, v45, s[18:19]
; %bb.514:                              ;   in Loop: Header=BB6_510 Depth=2
	s_or_b64 exec, exec, s[62:63]
	v_and_b32_e32 v3, 0xffff0000, v10
	v_and_b32_e32 v10, 0xffff0000, v14
	v_add_f32_e32 v14, v10, v3
	v_and_b32_e32 v3, 0x7f800000, v14
	v_cmp_ne_u32_e64 s[18:19], s95, v3
                                        ; implicit-def: $vgpr10
	s_and_saveexec_b64 s[62:63], s[18:19]
	s_xor_b64 s[18:19], exec, s[62:63]
; %bb.515:                              ;   in Loop: Header=BB6_510 Depth=2
	v_bfe_u32 v3, v14, 16, 1
	v_add3_u32 v10, v14, v3, s31
                                        ; implicit-def: $vgpr14
; %bb.516:                              ;   in Loop: Header=BB6_510 Depth=2
	s_andn2_saveexec_b64 s[62:63], s[18:19]
; %bb.517:                              ;   in Loop: Header=BB6_510 Depth=2
	v_or_b32_e32 v3, 0x10000, v14
	v_cmp_eq_u32_sdwa s[18:19], v14, v51 src0_sel:WORD_0 src1_sel:DWORD
	v_cndmask_b32_e64 v10, v3, v14, s[18:19]
; %bb.518:                              ;   in Loop: Header=BB6_510 Depth=2
	s_or_b64 exec, exec, s[62:63]
	v_lshlrev_b32_e32 v3, 16, v11
	v_lshlrev_b32_e32 v14, 16, v15
	v_add_f32_e32 v45, v14, v3
	v_and_b32_e32 v3, 0x7f800000, v45
	v_cmp_ne_u32_e64 s[18:19], s95, v3
                                        ; implicit-def: $vgpr14
	s_and_saveexec_b64 s[62:63], s[18:19]
	s_xor_b64 s[18:19], exec, s[62:63]
; %bb.519:                              ;   in Loop: Header=BB6_510 Depth=2
	v_bfe_u32 v3, v45, 16, 1
	v_add3_u32 v14, v45, v3, s31
                                        ; implicit-def: $vgpr45
; %bb.520:                              ;   in Loop: Header=BB6_510 Depth=2
	s_andn2_saveexec_b64 s[62:63], s[18:19]
; %bb.521:                              ;   in Loop: Header=BB6_510 Depth=2
	v_or_b32_e32 v3, 0x10000, v45
	v_cmp_eq_u32_sdwa s[18:19], v45, v51 src0_sel:WORD_0 src1_sel:DWORD
	v_cndmask_b32_e64 v14, v3, v45, s[18:19]
; %bb.522:                              ;   in Loop: Header=BB6_510 Depth=2
	s_or_b64 exec, exec, s[62:63]
	v_and_b32_e32 v3, 0xffff0000, v15
	v_and_b32_e32 v11, 0xffff0000, v11
	v_add_f32_e32 v15, v3, v11
	v_and_b32_e32 v3, 0x7f800000, v15
	v_cmp_ne_u32_e64 s[18:19], s95, v3
                                        ; implicit-def: $vgpr11
	s_and_saveexec_b64 s[62:63], s[18:19]
	s_xor_b64 s[18:19], exec, s[62:63]
; %bb.523:                              ;   in Loop: Header=BB6_510 Depth=2
	v_bfe_u32 v3, v15, 16, 1
	v_add3_u32 v11, v15, v3, s31
                                        ; implicit-def: $vgpr15
; %bb.524:                              ;   in Loop: Header=BB6_510 Depth=2
	s_andn2_saveexec_b64 s[62:63], s[18:19]
; %bb.525:                              ;   in Loop: Header=BB6_510 Depth=2
	v_or_b32_e32 v3, 0x10000, v15
	v_cmp_eq_u32_sdwa s[18:19], v15, v51 src0_sel:WORD_0 src1_sel:DWORD
	v_cndmask_b32_e64 v11, v3, v15, s[18:19]
; %bb.526:                              ;   in Loop: Header=BB6_510 Depth=2
	s_or_b64 exec, exec, s[62:63]
	v_lshlrev_b32_e32 v3, 16, v12
	v_lshlrev_b32_e32 v15, 16, v16
	v_add_f32_e32 v45, v15, v3
	v_and_b32_e32 v3, 0x7f800000, v45
	v_cmp_ne_u32_e64 s[18:19], s95, v3
                                        ; implicit-def: $vgpr15
	s_and_saveexec_b64 s[62:63], s[18:19]
	s_xor_b64 s[18:19], exec, s[62:63]
; %bb.527:                              ;   in Loop: Header=BB6_510 Depth=2
	v_bfe_u32 v3, v45, 16, 1
	v_add3_u32 v15, v45, v3, s31
                                        ; implicit-def: $vgpr45
; %bb.528:                              ;   in Loop: Header=BB6_510 Depth=2
	s_andn2_saveexec_b64 s[62:63], s[18:19]
; %bb.529:                              ;   in Loop: Header=BB6_510 Depth=2
	v_or_b32_e32 v3, 0x10000, v45
	v_cmp_eq_u32_sdwa s[18:19], v45, v51 src0_sel:WORD_0 src1_sel:DWORD
	v_cndmask_b32_e64 v15, v3, v45, s[18:19]
; %bb.530:                              ;   in Loop: Header=BB6_510 Depth=2
	s_or_b64 exec, exec, s[62:63]
	v_and_b32_e32 v3, 0xffff0000, v16
	v_and_b32_e32 v12, 0xffff0000, v12
	v_add_f32_e32 v16, v3, v12
	v_and_b32_e32 v3, 0x7f800000, v16
	v_cmp_ne_u32_e64 s[18:19], s95, v3
                                        ; implicit-def: $vgpr12
	s_and_saveexec_b64 s[62:63], s[18:19]
	s_xor_b64 s[18:19], exec, s[62:63]
; %bb.531:                              ;   in Loop: Header=BB6_510 Depth=2
	v_bfe_u32 v3, v16, 16, 1
	v_add3_u32 v12, v16, v3, s31
                                        ; implicit-def: $vgpr16
; %bb.532:                              ;   in Loop: Header=BB6_510 Depth=2
	s_andn2_saveexec_b64 s[62:63], s[18:19]
; %bb.533:                              ;   in Loop: Header=BB6_510 Depth=2
	v_or_b32_e32 v3, 0x10000, v16
	v_cmp_eq_u32_sdwa s[18:19], v16, v51 src0_sel:WORD_0 src1_sel:DWORD
	v_cndmask_b32_e64 v12, v3, v16, s[18:19]
; %bb.534:                              ;   in Loop: Header=BB6_510 Depth=2
	s_or_b64 exec, exec, s[62:63]
	v_lshlrev_b32_e32 v3, 16, v13
	v_lshlrev_b32_e32 v16, 16, v17
	v_add_f32_e32 v45, v16, v3
	v_and_b32_e32 v3, 0x7f800000, v45
	v_cmp_ne_u32_e64 s[18:19], s95, v3
                                        ; implicit-def: $vgpr16
	s_and_saveexec_b64 s[62:63], s[18:19]
	s_xor_b64 s[18:19], exec, s[62:63]
; %bb.535:                              ;   in Loop: Header=BB6_510 Depth=2
	v_bfe_u32 v3, v45, 16, 1
	v_add3_u32 v16, v45, v3, s31
                                        ; implicit-def: $vgpr45
; %bb.536:                              ;   in Loop: Header=BB6_510 Depth=2
	s_andn2_saveexec_b64 s[62:63], s[18:19]
; %bb.537:                              ;   in Loop: Header=BB6_510 Depth=2
	v_or_b32_e32 v3, 0x10000, v45
	v_cmp_eq_u32_sdwa s[18:19], v45, v51 src0_sel:WORD_0 src1_sel:DWORD
	v_cndmask_b32_e64 v16, v3, v45, s[18:19]
; %bb.538:                              ;   in Loop: Header=BB6_510 Depth=2
	s_or_b64 exec, exec, s[62:63]
	v_and_b32_e32 v3, 0xffff0000, v17
	v_and_b32_e32 v13, 0xffff0000, v13
	v_add_f32_e32 v17, v3, v13
	v_and_b32_e32 v3, 0x7f800000, v17
	v_cmp_ne_u32_e64 s[18:19], s95, v3
                                        ; implicit-def: $vgpr13
	s_and_saveexec_b64 s[62:63], s[18:19]
	s_xor_b64 s[18:19], exec, s[62:63]
; %bb.539:                              ;   in Loop: Header=BB6_510 Depth=2
	v_bfe_u32 v3, v17, 16, 1
	v_add3_u32 v13, v17, v3, s31
                                        ; implicit-def: $vgpr17
; %bb.540:                              ;   in Loop: Header=BB6_510 Depth=2
	s_andn2_saveexec_b64 s[62:63], s[18:19]
	s_cbranch_execz .LBB6_509
; %bb.541:                              ;   in Loop: Header=BB6_510 Depth=2
	v_or_b32_e32 v3, 0x10000, v17
	v_cmp_eq_u32_sdwa s[18:19], v17, v51 src0_sel:WORD_0 src1_sel:DWORD
	v_cndmask_b32_e64 v13, v3, v17, s[18:19]
	s_branch .LBB6_509
.LBB6_542:                              ;   in Loop: Header=BB6_365 Depth=1
	s_or_b64 exec, exec, s[60:61]
.LBB6_543:                              ;   in Loop: Header=BB6_365 Depth=1
	s_or_b64 exec, exec, s[58:59]
	v_and_b32_e32 v3, 14, v30
	v_cndmask_b32_e32 v30, v31, v3, vcc
	v_mov_b32_e32 v16, 0
	v_cmp_ne_u32_e64 s[18:19], 0, v30
	s_mov_b64 s[58:59], 0
                                        ; implicit-def: $vgpr17
                                        ; implicit-def: $vgpr10
	s_and_saveexec_b64 s[60:61], s[18:19]
	s_cbranch_execz .LBB6_545
; %bb.544:                              ;   in Loop: Header=BB6_365 Depth=1
	v_sub_u32_e32 v3, v31, v3
	v_cndmask_b32_e32 v3, 0, v3, vcc
	v_cmp_lt_i32_e32 vcc, 0, v29
	v_add3_u32 v16, v28, v24, v3
	v_cndmask_b32_e32 v3, 0, v2, vcc
	v_sub_u32_e32 v3, v3, v29
	v_lshl_add_u32 v17, v3, 6, v25
	v_ashrrev_i32_e32 v3, 31, v17
	v_lshrrev_b32_e32 v3, 26, v3
	v_add_u32_e32 v3, v17, v3
	s_mov_b64 s[58:59], exec
	v_ashrrev_i32_e32 v10, 6, v3
.LBB6_545:                              ;   in Loop: Header=BB6_365 Depth=1
	s_or_b64 exec, exec, s[60:61]
	s_and_b64 s[58:59], s[58:59], exec
.LBB6_546:                              ;   in Loop: Header=BB6_365 Depth=1
	s_or_b64 exec, exec, s[56:57]
	s_and_saveexec_b64 s[18:19], s[58:59]
	s_cbranch_execz .LBB6_591
.LBB6_547:                              ;   in Loop: Header=BB6_365 Depth=1
	v_ashrrev_i32_e32 v3, 31, v30
	v_lshrrev_b32_e32 v3, 22, v3
	v_add_u32_e32 v3, v30, v3
	v_ashrrev_i32_e32 v20, 10, v3
	v_sub_u32_e32 v18, v20, v10
	v_ashrrev_i32_e32 v3, 31, v17
	v_cmp_lt_i32_e32 vcc, 0, v18
	v_lshrrev_b32_e32 v19, 26, v3
	s_and_saveexec_b64 s[56:57], vcc
	s_cbranch_execz .LBB6_583
; %bb.548:                              ;   in Loop: Header=BB6_365 Depth=1
	v_add_u32_e32 v3, v17, v19
	v_and_b32_e32 v3, 0x7fffffc0, v3
	v_sub_u32_e32 v3, v17, v3
	s_trap 2
	ds_read_b64 v[12:13], v0
	v_lshlrev_b32_e32 v3, 1, v3
	v_lshlrev_b32_e32 v10, 10, v10
	v_add3_u32 v3, v3, v16, v10
	v_ashrrev_i32_e32 v15, 31, v3
	v_add_co_u32_e32 v10, vcc, v3, v40
	v_addc_co_u32_e32 v11, vcc, v15, v41, vcc
	s_waitcnt lgkmcnt(0)
	v_add_co_u32_e32 v12, vcc, v12, v3
	v_addc_co_u32_e32 v13, vcc, v13, v15, vcc
	v_add_co_u32_e32 v14, vcc, 0x380, v42
	v_addc_co_u32_e32 v21, vcc, 0, v43, vcc
	;; [unrolled: 2-line block ×3, first 2 shown]
	s_mov_b64 s[58:59], 0
	s_branch .LBB6_550
.LBB6_549:                              ;   in Loop: Header=BB6_550 Depth=2
	s_or_b64 exec, exec, s[60:61]
	v_add_co_u32_e32 v34, vcc, 0xfffffc80, v14
	v_addc_co_u32_e32 v35, vcc, -1, v15, vcc
	flat_store_short_d16_hi v[34:35], v21 glc slc
	v_add_co_u32_e32 v34, vcc, 0xfffffd00, v14
	v_addc_co_u32_e32 v35, vcc, -1, v15, vcc
	v_add_co_u32_e32 v23, vcc, 0xfffffd80, v14
	flat_store_short_d16_hi v[34:35], v24 glc slc
	v_addc_co_u32_e32 v24, vcc, -1, v15, vcc
	flat_store_short_d16_hi v[23:24], v28 glc slc
	v_add_co_u32_e32 v23, vcc, 0xfffffe00, v14
	v_addc_co_u32_e32 v24, vcc, -1, v15, vcc
	flat_store_short_d16_hi v[23:24], v31 glc slc
	v_add_co_u32_e32 v23, vcc, 0xfffffe80, v14
	;; [unrolled: 3-line block ×4, first 2 shown]
	v_addc_co_u32_e32 v24, vcc, -1, v15, vcc
	v_add_co_u32_e32 v10, vcc, v10, v59
	v_addc_co_u32_e32 v11, vcc, 0, v11, vcc
	v_add_co_u32_e32 v12, vcc, v12, v59
	v_addc_co_u32_e32 v13, vcc, 0, v13, vcc
	v_sub_u32_e32 v18, v18, v2
	v_cmp_gt_i32_e32 vcc, 1, v18
	flat_store_short_d16_hi v[23:24], v25 glc slc
	flat_store_short_d16_hi v[14:15], v22 glc slc
	s_or_b64 s[58:59], vcc, s[58:59]
	v_add_co_u32_e32 v14, vcc, v14, v59
	v_addc_co_u32_e32 v15, vcc, 0, v15, vcc
	s_andn2_b64 exec, exec, s[58:59]
	s_cbranch_execz .LBB6_582
.LBB6_550:                              ;   Parent Loop BB6_365 Depth=1
                                        ; =>  This Inner Loop Header: Depth=2
	flat_load_ushort v28, v[10:11] offset:256 glc slc
	flat_load_ushort v31, v[10:11] offset:384 glc slc
	;; [unrolled: 1-line block ×6, first 2 shown]
	flat_load_ushort v3, v[10:11] glc slc
	flat_load_ushort v24, v[10:11] offset:128 glc slc
	flat_load_ushort v56, v[12:13] offset:256 glc slc
	;; [unrolled: 1-line block ×3, first 2 shown]
	flat_load_ushort v21, v[12:13] glc slc
	flat_load_ushort v46, v[12:13] offset:512 glc slc
	flat_load_ushort v44, v[12:13] offset:640 glc slc
	;; [unrolled: 1-line block ×5, first 2 shown]
	s_waitcnt vmcnt(0) lgkmcnt(0)
	v_lshlrev_b32_e32 v3, 16, v3
	v_lshlrev_b32_e32 v21, 16, v21
	v_add_f32_e32 v3, v3, v21
	v_and_b32_e32 v21, 0x7f800000, v3
	v_cmp_ne_u32_e32 vcc, s95, v21
                                        ; implicit-def: $vgpr21
	s_and_saveexec_b64 s[60:61], vcc
	s_xor_b64 s[60:61], exec, s[60:61]
; %bb.551:                              ;   in Loop: Header=BB6_550 Depth=2
	v_bfe_u32 v21, v3, 16, 1
	v_add3_u32 v21, v3, v21, s31
                                        ; implicit-def: $vgpr3
; %bb.552:                              ;   in Loop: Header=BB6_550 Depth=2
	s_andn2_saveexec_b64 s[60:61], s[60:61]
; %bb.553:                              ;   in Loop: Header=BB6_550 Depth=2
	v_or_b32_e32 v21, 0x10000, v3
	v_cmp_eq_u32_sdwa vcc, v3, v51 src0_sel:WORD_0 src1_sel:DWORD
	v_cndmask_b32_e32 v21, v21, v3, vcc
; %bb.554:                              ;   in Loop: Header=BB6_550 Depth=2
	s_or_b64 exec, exec, s[60:61]
	v_lshlrev_b32_e32 v3, 16, v24
	v_lshlrev_b32_e32 v24, 16, v61
	v_add_f32_e32 v3, v3, v24
	v_and_b32_e32 v24, 0x7f800000, v3
	v_cmp_ne_u32_e32 vcc, s95, v24
                                        ; implicit-def: $vgpr24
	s_and_saveexec_b64 s[60:61], vcc
	s_xor_b64 s[60:61], exec, s[60:61]
; %bb.555:                              ;   in Loop: Header=BB6_550 Depth=2
	v_bfe_u32 v24, v3, 16, 1
	v_add3_u32 v24, v3, v24, s31
                                        ; implicit-def: $vgpr3
; %bb.556:                              ;   in Loop: Header=BB6_550 Depth=2
	s_andn2_saveexec_b64 s[60:61], s[60:61]
; %bb.557:                              ;   in Loop: Header=BB6_550 Depth=2
	v_or_b32_e32 v24, 0x10000, v3
	v_cmp_eq_u32_sdwa vcc, v3, v51 src0_sel:WORD_0 src1_sel:DWORD
	v_cndmask_b32_e32 v24, v24, v3, vcc
; %bb.558:                              ;   in Loop: Header=BB6_550 Depth=2
	s_or_b64 exec, exec, s[60:61]
	v_lshlrev_b32_e32 v3, 16, v28
	v_lshlrev_b32_e32 v28, 16, v56
	v_add_f32_e32 v3, v3, v28
	v_and_b32_e32 v28, 0x7f800000, v3
	v_cmp_ne_u32_e32 vcc, s95, v28
                                        ; implicit-def: $vgpr28
	s_and_saveexec_b64 s[60:61], vcc
	s_xor_b64 s[60:61], exec, s[60:61]
; %bb.559:                              ;   in Loop: Header=BB6_550 Depth=2
	v_bfe_u32 v28, v3, 16, 1
	v_add3_u32 v28, v3, v28, s31
                                        ; implicit-def: $vgpr3
; %bb.560:                              ;   in Loop: Header=BB6_550 Depth=2
	s_andn2_saveexec_b64 s[60:61], s[60:61]
; %bb.561:                              ;   in Loop: Header=BB6_550 Depth=2
	v_or_b32_e32 v28, 0x10000, v3
	v_cmp_eq_u32_sdwa vcc, v3, v51 src0_sel:WORD_0 src1_sel:DWORD
	v_cndmask_b32_e32 v28, v28, v3, vcc
; %bb.562:                              ;   in Loop: Header=BB6_550 Depth=2
	s_or_b64 exec, exec, s[60:61]
	v_lshlrev_b32_e32 v3, 16, v31
	v_lshlrev_b32_e32 v31, 16, v47
	v_add_f32_e32 v3, v3, v31
	v_and_b32_e32 v31, 0x7f800000, v3
	v_cmp_ne_u32_e32 vcc, s95, v31
                                        ; implicit-def: $vgpr31
	s_and_saveexec_b64 s[60:61], vcc
	s_xor_b64 s[60:61], exec, s[60:61]
; %bb.563:                              ;   in Loop: Header=BB6_550 Depth=2
	v_bfe_u32 v31, v3, 16, 1
	v_add3_u32 v31, v3, v31, s31
                                        ; implicit-def: $vgpr3
; %bb.564:                              ;   in Loop: Header=BB6_550 Depth=2
	s_andn2_saveexec_b64 s[60:61], s[60:61]
; %bb.565:                              ;   in Loop: Header=BB6_550 Depth=2
	v_or_b32_e32 v31, 0x10000, v3
	v_cmp_eq_u32_sdwa vcc, v3, v51 src0_sel:WORD_0 src1_sel:DWORD
	v_cndmask_b32_e32 v31, v31, v3, vcc
; %bb.566:                              ;   in Loop: Header=BB6_550 Depth=2
	s_or_b64 exec, exec, s[60:61]
	v_lshlrev_b32_e32 v3, 16, v45
	v_lshlrev_b32_e32 v34, 16, v46
	v_add_f32_e32 v3, v3, v34
	v_and_b32_e32 v34, 0x7f800000, v3
	v_cmp_ne_u32_e32 vcc, s95, v34
                                        ; implicit-def: $vgpr45
	s_and_saveexec_b64 s[60:61], vcc
	s_xor_b64 s[60:61], exec, s[60:61]
; %bb.567:                              ;   in Loop: Header=BB6_550 Depth=2
	v_bfe_u32 v34, v3, 16, 1
	v_add3_u32 v45, v3, v34, s31
                                        ; implicit-def: $vgpr3
; %bb.568:                              ;   in Loop: Header=BB6_550 Depth=2
	s_andn2_saveexec_b64 s[60:61], s[60:61]
; %bb.569:                              ;   in Loop: Header=BB6_550 Depth=2
	v_or_b32_e32 v34, 0x10000, v3
	v_cmp_eq_u32_sdwa vcc, v3, v51 src0_sel:WORD_0 src1_sel:DWORD
	v_cndmask_b32_e32 v45, v34, v3, vcc
; %bb.570:                              ;   in Loop: Header=BB6_550 Depth=2
	s_or_b64 exec, exec, s[60:61]
	v_lshlrev_b32_e32 v3, 16, v55
	v_lshlrev_b32_e32 v34, 16, v44
	v_add_f32_e32 v3, v3, v34
	v_and_b32_e32 v34, 0x7f800000, v3
	v_cmp_ne_u32_e32 vcc, s95, v34
                                        ; implicit-def: $vgpr55
	s_and_saveexec_b64 s[60:61], vcc
	s_xor_b64 s[60:61], exec, s[60:61]
; %bb.571:                              ;   in Loop: Header=BB6_550 Depth=2
	v_bfe_u32 v34, v3, 16, 1
	v_add3_u32 v55, v3, v34, s31
                                        ; implicit-def: $vgpr3
; %bb.572:                              ;   in Loop: Header=BB6_550 Depth=2
	s_andn2_saveexec_b64 s[60:61], s[60:61]
; %bb.573:                              ;   in Loop: Header=BB6_550 Depth=2
	v_or_b32_e32 v34, 0x10000, v3
	v_cmp_eq_u32_sdwa vcc, v3, v51 src0_sel:WORD_0 src1_sel:DWORD
	v_cndmask_b32_e32 v55, v34, v3, vcc
; %bb.574:                              ;   in Loop: Header=BB6_550 Depth=2
	s_or_b64 exec, exec, s[60:61]
	v_lshlrev_b32_e32 v3, 16, v25
	v_lshlrev_b32_e32 v25, 16, v29
	v_add_f32_e32 v3, v3, v25
	v_and_b32_e32 v25, 0x7f800000, v3
	v_cmp_ne_u32_e32 vcc, s95, v25
                                        ; implicit-def: $vgpr25
	s_and_saveexec_b64 s[60:61], vcc
	s_xor_b64 s[60:61], exec, s[60:61]
; %bb.575:                              ;   in Loop: Header=BB6_550 Depth=2
	v_bfe_u32 v25, v3, 16, 1
	v_add3_u32 v25, v3, v25, s31
                                        ; implicit-def: $vgpr3
; %bb.576:                              ;   in Loop: Header=BB6_550 Depth=2
	s_andn2_saveexec_b64 s[60:61], s[60:61]
; %bb.577:                              ;   in Loop: Header=BB6_550 Depth=2
	v_or_b32_e32 v25, 0x10000, v3
	v_cmp_eq_u32_sdwa vcc, v3, v51 src0_sel:WORD_0 src1_sel:DWORD
	v_cndmask_b32_e32 v25, v25, v3, vcc
; %bb.578:                              ;   in Loop: Header=BB6_550 Depth=2
	s_or_b64 exec, exec, s[60:61]
	v_lshlrev_b32_e32 v3, 16, v22
	v_lshlrev_b32_e32 v22, 16, v23
	v_add_f32_e32 v3, v3, v22
	v_and_b32_e32 v22, 0x7f800000, v3
	v_cmp_ne_u32_e32 vcc, s95, v22
                                        ; implicit-def: $vgpr22
	s_and_saveexec_b64 s[60:61], vcc
	s_xor_b64 s[60:61], exec, s[60:61]
; %bb.579:                              ;   in Loop: Header=BB6_550 Depth=2
	v_bfe_u32 v22, v3, 16, 1
	v_add3_u32 v22, v3, v22, s31
                                        ; implicit-def: $vgpr3
; %bb.580:                              ;   in Loop: Header=BB6_550 Depth=2
	s_andn2_saveexec_b64 s[60:61], s[60:61]
	s_cbranch_execz .LBB6_549
; %bb.581:                              ;   in Loop: Header=BB6_550 Depth=2
	v_or_b32_e32 v22, 0x10000, v3
	v_cmp_eq_u32_sdwa vcc, v3, v51 src0_sel:WORD_0 src1_sel:DWORD
	v_cndmask_b32_e32 v22, v22, v3, vcc
	s_branch .LBB6_549
.LBB6_582:                              ;   in Loop: Header=BB6_365 Depth=1
	s_or_b64 exec, exec, s[58:59]
	v_mov_b32_e32 v46, v37
.LBB6_583:                              ;   in Loop: Header=BB6_365 Depth=1
	s_or_b64 exec, exec, s[56:57]
	v_lshlrev_b32_e32 v3, 10, v20
	v_cmp_ne_u32_e32 vcc, v30, v3
	s_and_b64 exec, exec, vcc
	s_cbranch_execz .LBB6_591
; %bb.584:                              ;   in Loop: Header=BB6_365 Depth=1
	v_add_u32_e32 v10, v17, v19
	v_and_b32_e32 v10, 0xffffffc0, v10
	v_sub_u32_e32 v10, v17, v10
	v_lshlrev_b32_e32 v11, 6, v18
	v_sub_u32_e32 v10, v10, v11
	v_ashrrev_i32_e32 v11, 31, v10
	v_lshrrev_b32_e32 v11, 26, v11
	v_add_u32_e32 v11, v10, v11
	v_and_b32_e32 v12, 0x7fffffc0, v11
	v_sub_u32_e32 v10, v10, v12
	v_lshlrev_b32_e32 v11, 1, v11
	v_and_b32_e32 v11, 0xffffff80, v11
	v_lshlrev_b32_e32 v10, 1, v10
	v_add3_u32 v3, v11, v10, v3
	v_sub_u32_e32 v17, v30, v3
	v_cmp_lt_i32_e32 vcc, 1, v17
	s_and_b64 exec, exec, vcc
	s_cbranch_execz .LBB6_591
; %bb.585:                              ;   in Loop: Header=BB6_365 Depth=1
	s_trap 2
	ds_read_b64 v[12:13], v0
	v_add_u32_e32 v3, v3, v16
	v_ashrrev_i32_e32 v15, 31, v3
	v_add_co_u32_e32 v10, vcc, v3, v40
	v_addc_co_u32_e32 v11, vcc, v15, v41, vcc
	s_waitcnt lgkmcnt(0)
	v_add_co_u32_e32 v12, vcc, v12, v3
	v_addc_co_u32_e32 v13, vcc, v13, v15, vcc
	v_add_co_u32_e32 v14, vcc, v3, v42
	v_addc_co_u32_e32 v15, vcc, v15, v43, vcc
	s_mov_b64 s[56:57], 0
	s_branch .LBB6_587
.LBB6_586:                              ;   in Loop: Header=BB6_587 Depth=2
	s_or_b64 exec, exec, s[58:59]
	v_add_co_u32_e32 v10, vcc, v10, v62
	v_addc_co_u32_e32 v11, vcc, 0, v11, vcc
	v_add_co_u32_e32 v12, vcc, v12, v62
	v_addc_co_u32_e32 v13, vcc, 0, v13, vcc
	v_sub_u32_e32 v17, v17, v62
	v_cmp_gt_i32_e32 vcc, 2, v17
	flat_store_short_d16_hi v[14:15], v16 glc slc
	s_or_b64 s[56:57], vcc, s[56:57]
	v_add_co_u32_e32 v14, vcc, v14, v62
	v_addc_co_u32_e32 v15, vcc, 0, v15, vcc
	s_andn2_b64 exec, exec, s[56:57]
	s_cbranch_execz .LBB6_591
.LBB6_587:                              ;   Parent Loop BB6_365 Depth=1
                                        ; =>  This Inner Loop Header: Depth=2
	flat_load_ushort v3, v[12:13] glc slc
	flat_load_ushort v16, v[10:11] glc slc
	s_waitcnt vmcnt(0) lgkmcnt(0)
	v_lshlrev_b32_e32 v3, 16, v3
	v_lshlrev_b32_e32 v16, 16, v16
	v_add_f32_e32 v3, v16, v3
	v_and_b32_e32 v16, 0x7f800000, v3
	v_cmp_ne_u32_e32 vcc, s95, v16
                                        ; implicit-def: $vgpr16
	s_and_saveexec_b64 s[58:59], vcc
	s_xor_b64 s[58:59], exec, s[58:59]
; %bb.588:                              ;   in Loop: Header=BB6_587 Depth=2
	v_bfe_u32 v16, v3, 16, 1
	v_add3_u32 v16, v3, v16, s31
                                        ; implicit-def: $vgpr3
; %bb.589:                              ;   in Loop: Header=BB6_587 Depth=2
	s_andn2_saveexec_b64 s[58:59], s[58:59]
	s_cbranch_execz .LBB6_586
; %bb.590:                              ;   in Loop: Header=BB6_587 Depth=2
	v_or_b32_e32 v16, 0x10000, v3
	v_cmp_eq_u32_sdwa vcc, v3, v51 src0_sel:WORD_0 src1_sel:DWORD
	v_cndmask_b32_e32 v16, v16, v3, vcc
	s_branch .LBB6_586
.LBB6_591:                              ;   in Loop: Header=BB6_365 Depth=1
	s_or_b64 exec, exec, s[18:19]
	v_cmp_ne_u32_e64 s[18:19], 0, v50
.LBB6_592:                              ;   in Loop: Header=BB6_365 Depth=1
	buffer_load_dword v10, off, s[0:3], s33 offset:76 ; 4-byte Folded Reload
	buffer_load_dword v11, off, s[0:3], s33 offset:80 ; 4-byte Folded Reload
	;; [unrolled: 1-line block ×4, first 2 shown]
	s_waitcnt vmcnt(0)
	v_mov_b32_e32 v35, v11
	v_mov_b32_e32 v34, v10
	s_and_saveexec_b64 s[56:57], s[10:11]
	s_cbranch_execz .LBB6_611
.LBB6_593:                              ;   in Loop: Header=BB6_365 Depth=1
	s_and_saveexec_b64 s[58:59], s[28:29]
	s_xor_b64 s[58:59], exec, s[58:59]
	s_cbranch_execz .LBB6_608
; %bb.594:                              ;   in Loop: Header=BB6_365 Depth=1
	s_and_saveexec_b64 s[60:61], s[12:13]
	s_cbranch_execz .LBB6_607
; %bb.595:                              ;   in Loop: Header=BB6_365 Depth=1
	s_mov_b64 s[72:73], exec
	v_mbcnt_lo_u32_b32 v3, s72, 0
	v_mbcnt_hi_u32_b32 v3, s73, v3
	v_cmp_eq_u32_e32 vcc, 0, v3
	s_waitcnt vmcnt(0) lgkmcnt(0)
	buffer_wbinvl1_vol
	s_and_saveexec_b64 s[62:63], vcc
	s_cbranch_execz .LBB6_597
; %bb.596:                              ;   in Loop: Header=BB6_365 Depth=1
	s_bcnt1_i32_b64 s72, s[72:73]
	v_mov_b32_e32 v50, s72
	ds_add_u64 v0, v[50:51]
	s_trap 2
.LBB6_597:                              ;   in Loop: Header=BB6_365 Depth=1
	s_or_b64 exec, exec, s[62:63]
	s_trap 2
	ds_read_b64 v[10:11], v0
	s_waitcnt lgkmcnt(0)
	v_add_co_u32_e32 v26, vcc, v26, v2
	v_addc_co_u32_e32 v27, vcc, 0, v27, vcc
	v_cmp_lt_u64_e32 vcc, v[10:11], v[26:27]
	s_and_saveexec_b64 s[62:63], vcc
	s_cbranch_execz .LBB6_606
; %bb.598:                              ;   in Loop: Header=BB6_365 Depth=1
	s_mov_b32 s92, 0
	s_mov_b64 s[72:73], 0
                                        ; implicit-def: $sgpr74_sgpr75
                                        ; implicit-def: $sgpr76_sgpr77
	s_branch .LBB6_600
.LBB6_599:                              ;   in Loop: Header=BB6_600 Depth=2
	s_or_b64 exec, exec, s[88:89]
	s_and_b64 s[78:79], exec, s[90:91]
	s_or_b64 s[72:73], s[78:79], s[72:73]
	s_andn2_b64 s[74:75], s[74:75], exec
	s_and_b64 s[78:79], s[76:77], exec
	s_or_b64 s[74:75], s[74:75], s[78:79]
	s_andn2_b64 exec, exec, s[72:73]
	s_cbranch_execz .LBB6_604
.LBB6_600:                              ;   Parent Loop BB6_365 Depth=1
                                        ; =>  This Inner Loop Header: Depth=2
	s_add_i32 s92, s92, 1
	s_cmpk_lg_i32 s92, 0x2710
	s_cselect_b64 s[78:79], -1, 0
	s_and_b64 vcc, exec, s[78:79]
	s_cbranch_vccz .LBB6_602
; %bb.601:                              ;   in Loop: Header=BB6_600 Depth=2
	s_mov_b64 s[90:91], -1
	s_or_b64 s[76:77], s[76:77], exec
	s_and_saveexec_b64 s[88:89], s[78:79]
	s_cbranch_execz .LBB6_599
	s_branch .LBB6_603
.LBB6_602:                              ;   in Loop: Header=BB6_600 Depth=2
	s_trap 2
	ds_read_b64 v[10:11], v0
	s_andn2_b64 s[78:79], s[78:79], exec
	s_mov_b32 s92, 0
	s_waitcnt lgkmcnt(0)
	flat_load_dword v3, v[10:11] glc
	s_waitcnt vmcnt(0) lgkmcnt(0)
	buffer_wbinvl1_vol
	v_cmp_eq_u32_e32 vcc, 0, v3
	s_and_b64 s[88:89], vcc, exec
	s_or_b64 s[78:79], s[78:79], s[88:89]
	s_mov_b64 s[90:91], -1
	s_or_b64 s[76:77], s[76:77], exec
	s_and_saveexec_b64 s[88:89], s[78:79]
	s_cbranch_execz .LBB6_599
.LBB6_603:                              ;   in Loop: Header=BB6_600 Depth=2
	s_sleep 1
	s_trap 2
	ds_read_b64 v[10:11], v0
	s_waitcnt lgkmcnt(0)
	s_andn2_b64 s[76:77], s[76:77], exec
	v_cmp_ge_u64_e32 vcc, v[10:11], v[26:27]
	s_orn2_b64 s[90:91], vcc, exec
	s_branch .LBB6_599
.LBB6_604:                              ;   in Loop: Header=BB6_365 Depth=1
	s_or_b64 exec, exec, s[72:73]
	s_and_saveexec_b64 s[72:73], s[74:75]
	s_xor_b64 s[72:73], exec, s[72:73]
	s_cbranch_execz .LBB6_606
; %bb.605:                              ;   in Loop: Header=BB6_365 Depth=1
	v_mov_b32_e32 v3, 1
	ds_write_b32 v0, v3
	s_trap 2
.LBB6_606:                              ;   in Loop: Header=BB6_365 Depth=1
	s_or_b64 exec, exec, s[62:63]
	;;#ASMSTART
	s_wakeup
	;;#ASMEND
.LBB6_607:                              ;   in Loop: Header=BB6_365 Depth=1
	s_or_b64 exec, exec, s[60:61]
.LBB6_608:                              ;   in Loop: Header=BB6_365 Depth=1
	s_andn2_saveexec_b64 s[58:59], s[58:59]
	s_cbranch_execz .LBB6_610
; %bb.609:                              ;   in Loop: Header=BB6_365 Depth=1
	s_waitcnt vmcnt(0) lgkmcnt(0)
	buffer_wbinvl1_vol
	s_barrier
.LBB6_610:                              ;   in Loop: Header=BB6_365 Depth=1
	s_or_b64 exec, exec, s[58:59]
.LBB6_611:                              ;   in Loop: Header=BB6_365 Depth=1
	s_or_b64 exec, exec, s[56:57]
	v_and_b32_e32 v3, 16, v60
	v_cmp_ne_u32_e32 vcc, 0, v3
	s_and_b64 s[56:57], vcc, s[18:19]
	s_and_saveexec_b64 s[18:19], s[56:57]
	s_cbranch_execz .LBB6_613
; %bb.612:                              ;   in Loop: Header=BB6_365 Depth=1
	s_waitcnt vmcnt(0) lgkmcnt(0)
	buffer_wbinvl1_vol
.LBB6_613:                              ;   in Loop: Header=BB6_365 Depth=1
	s_or_b64 exec, exec, s[18:19]
	v_and_b32_e32 v3, 32, v60
	v_cmp_ne_u32_e32 vcc, 0, v3
	s_and_saveexec_b64 s[18:19], vcc
	s_cbranch_execz .LBB6_615
; %bb.614:                              ;   in Loop: Header=BB6_365 Depth=1
	v_add_co_u32_e32 v8, vcc, 1, v8
	v_addc_co_u32_e32 v9, vcc, 0, v9, vcc
	flat_store_dwordx2 v[32:33], v[8:9]
.LBB6_615:                              ;   in Loop: Header=BB6_365 Depth=1
	s_or_b64 exec, exec, s[18:19]
	v_mov_b32_e32 v14, v57
.LBB6_616:                              ;   in Loop: Header=BB6_365 Depth=1
	s_or_b64 exec, exec, s[46:47]
	s_and_saveexec_b64 s[46:47], s[44:45]
	s_cbranch_execz .LBB6_364
; %bb.617:                              ;   in Loop: Header=BB6_365 Depth=1
	v_and_b32_e32 v3, 4, v60
	v_cmp_ne_u32_e32 vcc, 0, v3
	s_and_saveexec_b64 s[44:45], vcc
	s_cbranch_execz .LBB6_639
; %bb.618:                              ;   in Loop: Header=BB6_365 Depth=1
	s_waitcnt lgkmcnt(0)
	v_add_co_u32_e32 v10, vcc, 1, v8
	v_addc_co_u32_e32 v11, vcc, 0, v9, vcc
	s_waitcnt vmcnt(0)
	v_cmp_lt_u64_e32 vcc, v[38:39], v[10:11]
	s_and_saveexec_b64 s[56:57], vcc
	s_cbranch_execz .LBB6_630
; %bb.619:                              ;   in Loop: Header=BB6_365 Depth=1
	v_and_b32_e32 v3, 64, v60
	s_mov_b32 s92, 0
	v_cmp_eq_u32_e32 vcc, 0, v3
	s_mov_b64 s[58:59], 0
                                        ; implicit-def: $sgpr60_sgpr61
                                        ; implicit-def: $sgpr62_sgpr63
                                        ; implicit-def: $sgpr72_sgpr73
	s_branch .LBB6_623
.LBB6_620:                              ;   in Loop: Header=BB6_623 Depth=2
	s_waitcnt vmcnt(0) lgkmcnt(0)
	v_cmp_ge_u64_e64 s[18:19], v[38:39], v[10:11]
	s_or_b64 s[78:79], s[78:79], exec
	s_orn2_b64 s[76:77], s[18:19], exec
.LBB6_621:                              ;   in Loop: Header=BB6_623 Depth=2
	s_or_b64 exec, exec, s[90:91]
	s_andn2_b64 s[18:19], s[72:73], exec
	s_and_b64 s[72:73], s[78:79], exec
	s_or_b64 s[72:73], s[18:19], s[72:73]
	s_andn2_b64 s[18:19], s[62:63], exec
	s_and_b64 s[62:63], s[76:77], exec
	s_or_b64 s[62:63], s[18:19], s[62:63]
.LBB6_622:                              ;   in Loop: Header=BB6_623 Depth=2
	s_or_b64 exec, exec, s[74:75]
	s_and_b64 s[18:19], exec, s[62:63]
	s_or_b64 s[58:59], s[18:19], s[58:59]
	s_andn2_b64 s[18:19], s[60:61], exec
	s_and_b64 s[60:61], s[72:73], exec
	s_or_b64 s[60:61], s[18:19], s[60:61]
	s_andn2_b64 exec, exec, s[58:59]
	s_cbranch_execz .LBB6_627
.LBB6_623:                              ;   Parent Loop BB6_365 Depth=1
                                        ; =>  This Inner Loop Header: Depth=2
	s_sleep 1
	s_waitcnt vmcnt(0) lgkmcnt(0)
	flat_load_dwordx2 v[38:39], v[32:33] glc
	s_or_b64 s[72:73], s[72:73], exec
	s_or_b64 s[62:63], s[62:63], exec
                                        ; implicit-def: $vgpr9
	s_and_saveexec_b64 s[74:75], vcc
	s_cbranch_execz .LBB6_622
; %bb.624:                              ;   in Loop: Header=BB6_623 Depth=2
	s_cmpk_lt_i32 s92, 0x270f
	s_cselect_b64 s[88:89], -1, 0
	s_cmpk_gt_i32 s92, 0x270e
	s_mov_b64 s[76:77], -1
	s_cbranch_scc0 .LBB6_626
; %bb.625:                              ;   in Loop: Header=BB6_623 Depth=2
	s_trap 2
	ds_read_b64 v[12:13], v0
	s_andn2_b64 s[88:89], s[88:89], exec
	s_mov_b32 s92, 0
	s_mov_b64 s[78:79], 0
	s_waitcnt vmcnt(0) lgkmcnt(0)
	flat_load_dword v9, v[12:13] glc
	s_waitcnt vmcnt(0) lgkmcnt(0)
	buffer_wbinvl1_vol
	v_cmp_eq_u32_e64 s[18:19], 0, v9
	s_and_b64 s[18:19], s[18:19], exec
	s_or_b64 s[88:89], s[88:89], s[18:19]
	s_and_saveexec_b64 s[90:91], s[88:89]
	s_cbranch_execz .LBB6_621
	s_branch .LBB6_620
.LBB6_626:                              ;   in Loop: Header=BB6_623 Depth=2
	s_add_i32 s92, s92, 1
	s_mov_b64 s[78:79], -1
                                        ; implicit-def: $vgpr9
	s_and_saveexec_b64 s[90:91], s[88:89]
	s_cbranch_execz .LBB6_621
	s_branch .LBB6_620
.LBB6_627:                              ;   in Loop: Header=BB6_365 Depth=1
	s_or_b64 exec, exec, s[58:59]
	s_xor_b64 s[18:19], s[60:61], -1
	s_and_saveexec_b64 s[58:59], s[18:19]
	s_xor_b64 s[18:19], exec, s[58:59]
	s_cbranch_execz .LBB6_629
; %bb.628:                              ;   in Loop: Header=BB6_365 Depth=1
	v_or_b32_e32 v60, 64, v60
	s_waitcnt lgkmcnt(0)
	ds_write_b32 v0, v9
	s_trap 2
.LBB6_629:                              ;   in Loop: Header=BB6_365 Depth=1
	s_or_b64 exec, exec, s[18:19]
.LBB6_630:                              ;   in Loop: Header=BB6_365 Depth=1
	s_or_b64 exec, exec, s[56:57]
	v_and_b32_e32 v3, 0x100, v60
	v_cmp_ne_u32_e32 vcc, 0, v3
	v_and_b32_e32 v15, 7, v8
	s_mov_b64 s[18:19], -1
	;;#ASMSTART
	s_wakeup
	;;#ASMEND
                                        ; implicit-def: $vgpr8_vgpr9
	s_and_saveexec_b64 s[56:57], vcc
	s_cbranch_execz .LBB6_634
; %bb.631:                              ;   in Loop: Header=BB6_365 Depth=1
	v_mad_u64_u32 v[12:13], s[18:19], v15, 24, v[6:7]
                                        ; implicit-def: $vgpr8_vgpr9
	flat_load_dword v3, v[12:13]
	s_waitcnt vmcnt(0) lgkmcnt(0)
	v_cmp_ne_u32_e32 vcc, 1, v3
	v_cmp_eq_u32_e64 s[18:19], 1, v3
	s_and_saveexec_b64 s[58:59], s[18:19]
	s_cbranch_execz .LBB6_633
; %bb.632:                              ;   in Loop: Header=BB6_365 Depth=1
	flat_load_dword v8, v[12:13] offset:4 glc
	s_waitcnt vmcnt(0) lgkmcnt(0)
	v_ashrrev_i32_e32 v9, 31, v8
	v_lshrrev_b64 v[8:9], 1, v[8:9]
.LBB6_633:                              ;   in Loop: Header=BB6_365 Depth=1
	s_or_b64 exec, exec, s[58:59]
	s_orn2_b64 s[18:19], vcc, exec
.LBB6_634:                              ;   in Loop: Header=BB6_365 Depth=1
	s_or_b64 exec, exec, s[56:57]
	s_and_saveexec_b64 s[56:57], s[18:19]
; %bb.635:                              ;   in Loop: Header=BB6_365 Depth=1
	v_mad_i64_i32 v[8:9], s[18:19], v15, v48, 0
; %bb.636:                              ;   in Loop: Header=BB6_365 Depth=1
	s_or_b64 exec, exec, s[56:57]
	v_lshlrev_b64 v[8:9], 1, v[8:9]
	v_and_b32_e32 v3, 0x2000, v60
	v_add_co_u32_e32 v8, vcc, v0, v8
	v_addc_co_u32_e32 v9, vcc, v1, v9, vcc
	v_cmp_ne_u32_e32 vcc, 0, v3
	ds_write_b64 v0, v[8:9] offset:728
	s_and_saveexec_b64 s[18:19], vcc
	s_cbranch_execz .LBB6_638
; %bb.637:                              ;   in Loop: Header=BB6_365 Depth=1
	ds_read_b64 v[8:9], v0 offset:872
	s_waitcnt lgkmcnt(0)
	v_add_co_u32_e32 v8, vcc, 1, v8
	v_addc_co_u32_e32 v9, vcc, 0, v9, vcc
	ds_write_b64 v0, v[8:9] offset:872
.LBB6_638:                              ;   in Loop: Header=BB6_365 Depth=1
	s_or_b64 exec, exec, s[18:19]
	v_mov_b32_e32 v8, v10
	v_mov_b32_e32 v9, v11
.LBB6_639:                              ;   in Loop: Header=BB6_365 Depth=1
	s_or_b64 exec, exec, s[44:45]
	s_and_saveexec_b64 s[18:19], s[10:11]
	s_cbranch_execz .LBB6_658
; %bb.640:                              ;   in Loop: Header=BB6_365 Depth=1
	s_and_saveexec_b64 s[44:45], s[28:29]
	s_xor_b64 s[44:45], exec, s[44:45]
	s_cbranch_execz .LBB6_655
; %bb.641:                              ;   in Loop: Header=BB6_365 Depth=1
	s_and_saveexec_b64 s[56:57], s[12:13]
	s_cbranch_execz .LBB6_654
; %bb.642:                              ;   in Loop: Header=BB6_365 Depth=1
	s_mov_b64 s[60:61], exec
	v_mbcnt_lo_u32_b32 v3, s60, 0
	v_mbcnt_hi_u32_b32 v3, s61, v3
	v_cmp_eq_u32_e32 vcc, 0, v3
	s_waitcnt vmcnt(0) lgkmcnt(0)
	buffer_wbinvl1_vol
	s_and_saveexec_b64 s[58:59], vcc
	s_cbranch_execz .LBB6_644
; %bb.643:                              ;   in Loop: Header=BB6_365 Depth=1
	s_bcnt1_i32_b64 s60, s[60:61]
	v_mov_b32_e32 v50, s60
	ds_add_u64 v0, v[50:51]
	s_trap 2
.LBB6_644:                              ;   in Loop: Header=BB6_365 Depth=1
	s_or_b64 exec, exec, s[58:59]
	s_trap 2
	ds_read_b64 v[10:11], v0
	s_waitcnt lgkmcnt(0)
	v_add_co_u32_e32 v26, vcc, v26, v2
	v_addc_co_u32_e32 v27, vcc, 0, v27, vcc
	v_cmp_lt_u64_e32 vcc, v[10:11], v[26:27]
	s_and_saveexec_b64 s[58:59], vcc
	s_cbranch_execz .LBB6_653
; %bb.645:                              ;   in Loop: Header=BB6_365 Depth=1
	s_mov_b32 s88, 0
	s_mov_b64 s[60:61], 0
                                        ; implicit-def: $sgpr62_sgpr63
                                        ; implicit-def: $sgpr72_sgpr73
	s_branch .LBB6_647
.LBB6_646:                              ;   in Loop: Header=BB6_647 Depth=2
	s_or_b64 exec, exec, s[76:77]
	s_and_b64 s[74:75], exec, s[78:79]
	s_or_b64 s[60:61], s[74:75], s[60:61]
	s_andn2_b64 s[62:63], s[62:63], exec
	s_and_b64 s[74:75], s[72:73], exec
	s_or_b64 s[62:63], s[62:63], s[74:75]
	s_andn2_b64 exec, exec, s[60:61]
	s_cbranch_execz .LBB6_651
.LBB6_647:                              ;   Parent Loop BB6_365 Depth=1
                                        ; =>  This Inner Loop Header: Depth=2
	s_add_i32 s88, s88, 1
	s_cmpk_lg_i32 s88, 0x2710
	s_cselect_b64 s[74:75], -1, 0
	s_and_b64 vcc, exec, s[74:75]
	s_cbranch_vccz .LBB6_649
; %bb.648:                              ;   in Loop: Header=BB6_647 Depth=2
	s_mov_b64 s[78:79], -1
	s_or_b64 s[72:73], s[72:73], exec
	s_and_saveexec_b64 s[76:77], s[74:75]
	s_cbranch_execz .LBB6_646
	s_branch .LBB6_650
.LBB6_649:                              ;   in Loop: Header=BB6_647 Depth=2
	s_trap 2
	ds_read_b64 v[10:11], v0
	s_andn2_b64 s[74:75], s[74:75], exec
	s_mov_b32 s88, 0
	s_waitcnt lgkmcnt(0)
	flat_load_dword v3, v[10:11] glc
	s_waitcnt vmcnt(0) lgkmcnt(0)
	buffer_wbinvl1_vol
	v_cmp_eq_u32_e32 vcc, 0, v3
	s_and_b64 s[76:77], vcc, exec
	s_or_b64 s[74:75], s[74:75], s[76:77]
	s_mov_b64 s[78:79], -1
	s_or_b64 s[72:73], s[72:73], exec
	s_and_saveexec_b64 s[76:77], s[74:75]
	s_cbranch_execz .LBB6_646
.LBB6_650:                              ;   in Loop: Header=BB6_647 Depth=2
	s_sleep 1
	s_trap 2
	ds_read_b64 v[10:11], v0
	s_waitcnt lgkmcnt(0)
	s_andn2_b64 s[72:73], s[72:73], exec
	v_cmp_ge_u64_e32 vcc, v[10:11], v[26:27]
	s_orn2_b64 s[78:79], vcc, exec
	s_branch .LBB6_646
.LBB6_651:                              ;   in Loop: Header=BB6_365 Depth=1
	s_or_b64 exec, exec, s[60:61]
	s_and_saveexec_b64 s[60:61], s[62:63]
	s_xor_b64 s[60:61], exec, s[60:61]
	s_cbranch_execz .LBB6_653
; %bb.652:                              ;   in Loop: Header=BB6_365 Depth=1
	v_mov_b32_e32 v3, 1
	ds_write_b32 v0, v3
	s_trap 2
.LBB6_653:                              ;   in Loop: Header=BB6_365 Depth=1
	s_or_b64 exec, exec, s[58:59]
	;;#ASMSTART
	s_wakeup
	;;#ASMEND
.LBB6_654:                              ;   in Loop: Header=BB6_365 Depth=1
	s_or_b64 exec, exec, s[56:57]
.LBB6_655:                              ;   in Loop: Header=BB6_365 Depth=1
	s_andn2_saveexec_b64 s[44:45], s[44:45]
	s_cbranch_execz .LBB6_657
; %bb.656:                              ;   in Loop: Header=BB6_365 Depth=1
	s_waitcnt vmcnt(0) lgkmcnt(0)
	buffer_wbinvl1_vol
	s_barrier
.LBB6_657:                              ;   in Loop: Header=BB6_365 Depth=1
	s_or_b64 exec, exec, s[44:45]
.LBB6_658:                              ;   in Loop: Header=BB6_365 Depth=1
	s_or_b64 exec, exec, s[18:19]
	s_trap 2
	s_waitcnt lgkmcnt(0)
	ds_read_b32 v3, v0
	v_sub_u32_e32 v10, v54, v14
	v_min_i32_e32 v10, v57, v10
	v_cmp_lt_i32_e32 vcc, 0, v10
	s_waitcnt lgkmcnt(0)
	v_readfirstlane_b32 s18, v3
	s_cmp_eq_u32 s18, 0
	s_cselect_b64 s[18:19], -1, 0
	v_and_b32_e32 v3, 16, v60
	s_and_b64 s[18:19], vcc, s[18:19]
	v_cmp_ne_u32_e32 vcc, 0, v3
	s_and_b64 s[44:45], vcc, s[18:19]
	s_and_saveexec_b64 s[18:19], s[44:45]
	s_cbranch_execz .LBB6_660
; %bb.659:                              ;   in Loop: Header=BB6_365 Depth=1
	s_waitcnt vmcnt(0)
	buffer_wbinvl1_vol
.LBB6_660:                              ;   in Loop: Header=BB6_365 Depth=1
	s_or_b64 exec, exec, s[18:19]
	v_and_b32_e32 v3, 32, v60
	v_cmp_ne_u32_e32 vcc, 0, v3
	s_and_saveexec_b64 s[18:19], vcc
	s_cbranch_execz .LBB6_363
; %bb.661:                              ;   in Loop: Header=BB6_365 Depth=1
	v_add_co_u32_e32 v8, vcc, 1, v8
	v_addc_co_u32_e32 v9, vcc, 0, v9, vcc
	flat_store_dwordx2 v[32:33], v[8:9]
	s_branch .LBB6_363
.LBB6_662:
	s_or_b64 exec, exec, s[40:41]
	buffer_load_dword v47, off, s[0:3], s33 offset:116 ; 4-byte Folded Reload
	buffer_load_dword v31, off, s[0:3], s33 offset:112 ; 4-byte Folded Reload
	;; [unrolled: 1-line block ×5, first 2 shown]
.LBB6_663:
	s_or_b64 exec, exec, s[26:27]
.LBB6_664:
	s_or_b64 exec, exec, s[20:21]
                                        ; implicit-def: $vgpr0_vgpr1
                                        ; kill: killed $vgpr0_vgpr1
                                        ; implicit-def: $vgpr34_vgpr35
                                        ; implicit-def: $vgpr57
                                        ; implicit-def: $vgpr38_vgpr39
                                        ; implicit-def: $vgpr32_vgpr33
                                        ; implicit-def: $vgpr49
                                        ; implicit-def: $vgpr24
                                        ; implicit-def: $vgpr4
                                        ; implicit-def: $vgpr0_vgpr1
                                        ; kill: killed $vgpr0_vgpr1
                                        ; implicit-def: $vgpr0_vgpr1
.LBB6_665:
	s_andn2_saveexec_b64 s[24:25], s[24:25]
	s_cbranch_execz .LBB6_839
; %bb.666:
	v_mov_b32_e32 v26, 0
	v_cmp_ne_u64_e32 vcc, 0, v[34:35]
	v_mov_b32_e32 v27, 0
	s_and_saveexec_b64 s[26:27], vcc
	s_cbranch_execz .LBB6_838
; %bb.667:
	s_waitcnt vmcnt(0)
	buffer_store_dword v28, off, s[0:3], s33 offset:96 ; 4-byte Folded Spill
	s_nop 0
	buffer_store_dword v29, off, s[0:3], s33 offset:100 ; 4-byte Folded Spill
	s_trap 2
	buffer_load_dword v12, off, s[0:3], s33 offset:68 ; 4-byte Folded Reload
	buffer_load_dword v13, off, s[0:3], s33 offset:72 ; 4-byte Folded Reload
	v_ashrrev_i32_e32 v3, 31, v49
	v_lshrrev_b32_e32 v3, 26, v3
	v_add_u32_e32 v10, v49, v3
	v_and_b32_e32 v3, 0xffffffc0, v10
	v_ashrrev_i32_e32 v23, 6, v10
	s_lshr_b32 s6, s30, 27
	v_and_b32_e32 v2, 63, v31
	v_sub_u32_e32 v3, v49, v3
	v_lshlrev_b32_e32 v10, 12, v23
	s_add_i32 s30, s30, s6
	v_cmp_eq_u32_e32 vcc, 64, v47
	v_cmp_eq_u32_e64 s[12:13], 0, v2
	v_lshrrev_b32_e32 v2, 6, v47
	v_cmp_lt_i32_e64 s[16:17], v3, v24
	v_lshl_add_u32 v24, v3, 4, v10
	v_lshlrev_b32_e32 v10, 1, v47
	v_mov_b32_e32 v26, 0
	v_mov_b32_e32 v14, v34
	s_ashr_i32 s94, s30, 5
	v_cmp_ge_i32_e64 s[6:7], v49, v47
	v_cmp_ne_u32_e64 s[10:11], 64, v47
	v_cmp_ne_u32_sdwa s[28:29], v47, v61 src0_sel:DWORD src1_sel:WORD_0
	v_mov_b32_e32 v11, 0
	v_cmp_gt_i32_e64 s[14:15], 1, v3
	v_ashrrev_i32_e32 v25, 31, v24
	v_lshlrev_b32_e32 v30, 12, v2
	v_lshlrev_b32_e32 v59, 10, v2
	v_and_b32_e32 v52, 0x7f80, v10
	s_mov_b64 s[40:41], 0
	v_mov_b32_e32 v27, 0
	v_mov_b32_e32 v53, 1
	s_xor_b64 s[42:43], vcc, -1
	v_mov_b32_e32 v15, v35
	buffer_store_dword v49, off, s[0:3], s33 offset:92 ; 4-byte Folded Spill
	buffer_store_dword v14, off, s[0:3], s33 offset:76 ; 4-byte Folded Spill
	s_nop 0
	buffer_store_dword v15, off, s[0:3], s33 offset:80 ; 4-byte Folded Spill
	buffer_store_dword v16, off, s[0:3], s33 offset:84 ; 4-byte Folded Spill
	;; [unrolled: 1-line block ×3, first 2 shown]
	s_waitcnt vmcnt(0)
	v_cmp_ne_u64_e64 s[18:19], 0, v[12:13]
	v_mov_b32_e32 v12, 0
	v_mov_b32_e32 v13, 0
	s_branch .LBB6_671
.LBB6_668:                              ;   in Loop: Header=BB6_671 Depth=1
	s_or_b64 exec, exec, s[44:45]
	v_add_co_u32_e32 v8, vcc, 1, v8
	v_addc_co_u32_e32 v9, vcc, 0, v9, vcc
	flat_store_dwordx2 v[32:33], v[8:9]
.LBB6_669:                              ;   in Loop: Header=BB6_671 Depth=1
	s_or_b64 exec, exec, s[20:21]
.LBB6_670:                              ;   in Loop: Header=BB6_671 Depth=1
	s_or_b64 exec, exec, s[46:47]
	v_add_co_u32_e32 v12, vcc, v12, v4
	v_addc_co_u32_e32 v13, vcc, 0, v13, vcc
	s_waitcnt vmcnt(0)
	v_cmp_ge_u64_e32 vcc, v[12:13], v[34:35]
	s_or_b64 s[40:41], vcc, s[40:41]
	s_andn2_b64 exec, exec, s[40:41]
	s_cbranch_execz .LBB6_837
.LBB6_671:                              ; =>This Loop Header: Depth=1
                                        ;     Child Loop BB6_680 Depth 2
                                        ;     Child Loop BB6_704 Depth 2
                                        ;     Child Loop BB6_723 Depth 2
                                        ;     Child Loop BB6_745 Depth 2
                                        ;     Child Loop BB6_750 Depth 2
                                        ;     Child Loop BB6_758 Depth 2
                                        ;     Child Loop BB6_763 Depth 2
                                        ;     Child Loop BB6_772 Depth 2
                                        ;     Child Loop BB6_797 Depth 2
                                        ;     Child Loop BB6_821 Depth 2
	v_sub_co_u32_e32 v14, vcc, v34, v12
	v_subb_co_u32_e32 v15, vcc, v35, v13, vcc
	v_cmp_lt_u64_e32 vcc, v[4:5], v[14:15]
	v_cndmask_b32_e64 v15, v15, 0, vcc
	v_cndmask_b32_e32 v14, v14, v4, vcc
	v_cmp_eq_u64_e32 vcc, 0, v[14:15]
	v_add_u32_e32 v10, 15, v14
	v_and_b32_e32 v10, 0x3ffffff0, v10
	s_or_b64 s[44:45], s[6:7], vcc
	v_max_i32_e32 v54, s94, v10
	s_xor_b64 s[20:21], s[44:45], -1
	v_mov_b32_e32 v10, 0
	s_and_saveexec_b64 s[46:47], s[20:21]
	s_cbranch_execz .LBB6_790
; %bb.672:                              ;   in Loop: Header=BB6_671 Depth=1
	s_and_saveexec_b64 s[20:21], s[4:5]
	s_cbranch_execz .LBB6_674
; %bb.673:                              ;   in Loop: Header=BB6_671 Depth=1
	s_trap 2
	s_waitcnt lgkmcnt(0)
	ds_read_b64 v[15:16], v0
	buffer_load_dword v17, off, s[0:3], s33 offset:60 ; 4-byte Folded Reload
	buffer_load_dword v18, off, s[0:3], s33 offset:64 ; 4-byte Folded Reload
	s_waitcnt vmcnt(0)
	v_lshlrev_b64 v[17:18], 1, v[17:18]
	s_waitcnt lgkmcnt(0)
	v_add_co_u32_e32 v10, vcc, v15, v17
	v_addc_co_u32_e32 v17, vcc, v16, v18, vcc
	v_lshlrev_b64 v[15:16], 1, v[12:13]
	v_add_co_u32_e32 v15, vcc, v10, v15
	v_addc_co_u32_e32 v16, vcc, v17, v16, vcc
	v_mov_b32_e32 v10, v11
	ds_write_b64 v0, v[15:16]
	ds_write_b64 v0, v[10:11]
.LBB6_674:                              ;   in Loop: Header=BB6_671 Depth=1
	s_or_b64 exec, exec, s[20:21]
	v_and_b32_e32 v10, 8, v60
	v_min_u32_e32 v54, v54, v14
	v_cmp_ne_u32_e32 vcc, 0, v10
	s_and_saveexec_b64 s[56:57], vcc
	s_cbranch_execz .LBB6_696
; %bb.675:                              ;   in Loop: Header=BB6_671 Depth=1
	v_add_co_u32_e32 v17, vcc, 8, v38
	v_addc_co_u32_e32 v18, vcc, 0, v39, vcc
	s_waitcnt lgkmcnt(0)
	v_add_co_u32_e32 v15, vcc, 1, v8
	v_addc_co_u32_e32 v16, vcc, 0, v9, vcc
	v_cmp_lt_u64_e32 vcc, v[17:18], v[15:16]
	s_and_saveexec_b64 s[58:59], vcc
	s_cbranch_execz .LBB6_687
; %bb.676:                              ;   in Loop: Header=BB6_671 Depth=1
	v_and_b32_e32 v9, 64, v60
	s_mov_b32 s95, 0
	v_cmp_eq_u32_e32 vcc, 0, v9
	s_mov_b64 s[60:61], 0
                                        ; implicit-def: $sgpr62_sgpr63
                                        ; implicit-def: $sgpr72_sgpr73
                                        ; implicit-def: $sgpr74_sgpr75
	s_branch .LBB6_680
.LBB6_677:                              ;   in Loop: Header=BB6_680 Depth=2
	s_waitcnt vmcnt(0) lgkmcnt(0)
	v_add_co_u32_e64 v17, s[20:21], 8, v38
	v_addc_co_u32_e64 v18, s[20:21], 0, v39, s[20:21]
	v_cmp_ge_u64_e64 s[20:21], v[17:18], v[15:16]
	s_or_b64 s[88:89], s[88:89], exec
	s_orn2_b64 s[78:79], s[20:21], exec
.LBB6_678:                              ;   in Loop: Header=BB6_680 Depth=2
	s_or_b64 exec, exec, s[92:93]
	s_andn2_b64 s[20:21], s[74:75], exec
	s_and_b64 s[74:75], s[88:89], exec
	s_or_b64 s[74:75], s[20:21], s[74:75]
	s_andn2_b64 s[20:21], s[72:73], exec
	s_and_b64 s[72:73], s[78:79], exec
	s_or_b64 s[72:73], s[20:21], s[72:73]
.LBB6_679:                              ;   in Loop: Header=BB6_680 Depth=2
	s_or_b64 exec, exec, s[76:77]
	s_and_b64 s[20:21], exec, s[72:73]
	s_or_b64 s[60:61], s[20:21], s[60:61]
	s_andn2_b64 s[20:21], s[62:63], exec
	s_and_b64 s[62:63], s[74:75], exec
	s_or_b64 s[62:63], s[20:21], s[62:63]
	s_andn2_b64 exec, exec, s[60:61]
	s_cbranch_execz .LBB6_684
.LBB6_680:                              ;   Parent Loop BB6_671 Depth=1
                                        ; =>  This Inner Loop Header: Depth=2
	s_sleep 1
	s_waitcnt vmcnt(0) lgkmcnt(0)
	flat_load_dwordx2 v[38:39], v[32:33] glc
	s_or_b64 s[74:75], s[74:75], exec
	s_or_b64 s[72:73], s[72:73], exec
                                        ; implicit-def: $vgpr9
	s_and_saveexec_b64 s[76:77], vcc
	s_cbranch_execz .LBB6_679
; %bb.681:                              ;   in Loop: Header=BB6_680 Depth=2
	s_cmpk_lt_i32 s95, 0x270f
	s_cselect_b64 s[90:91], -1, 0
	s_cmpk_gt_i32 s95, 0x270e
	s_mov_b64 s[78:79], -1
	s_cbranch_scc0 .LBB6_683
; %bb.682:                              ;   in Loop: Header=BB6_680 Depth=2
	s_trap 2
	ds_read_b64 v[9:10], v0
	s_andn2_b64 s[90:91], s[90:91], exec
	s_mov_b32 s95, 0
	s_mov_b64 s[88:89], 0
	s_waitcnt vmcnt(0) lgkmcnt(0)
	flat_load_dword v9, v[9:10] glc
	s_waitcnt vmcnt(0) lgkmcnt(0)
	buffer_wbinvl1_vol
	v_cmp_eq_u32_e64 s[20:21], 0, v9
	s_and_b64 s[20:21], s[20:21], exec
	s_or_b64 s[90:91], s[90:91], s[20:21]
	s_and_saveexec_b64 s[92:93], s[90:91]
	s_cbranch_execz .LBB6_678
	s_branch .LBB6_677
.LBB6_683:                              ;   in Loop: Header=BB6_680 Depth=2
	s_add_i32 s95, s95, 1
	s_mov_b64 s[88:89], -1
                                        ; implicit-def: $vgpr9
	s_and_saveexec_b64 s[92:93], s[90:91]
	s_cbranch_execz .LBB6_678
	s_branch .LBB6_677
.LBB6_684:                              ;   in Loop: Header=BB6_671 Depth=1
	s_or_b64 exec, exec, s[60:61]
	s_xor_b64 s[20:21], s[62:63], -1
	s_and_saveexec_b64 s[60:61], s[20:21]
	s_xor_b64 s[20:21], exec, s[60:61]
	s_cbranch_execz .LBB6_686
; %bb.685:                              ;   in Loop: Header=BB6_671 Depth=1
	v_or_b32_e32 v60, 64, v60
	s_waitcnt lgkmcnt(0)
	ds_write_b32 v0, v9
	s_trap 2
.LBB6_686:                              ;   in Loop: Header=BB6_671 Depth=1
	s_or_b64 exec, exec, s[20:21]
.LBB6_687:                              ;   in Loop: Header=BB6_671 Depth=1
	s_or_b64 exec, exec, s[58:59]
	v_and_b32_e32 v9, 0x100, v60
	v_cmp_ne_u32_e32 vcc, 0, v9
	v_and_b32_e32 v19, 7, v8
	s_mov_b64 s[20:21], -1
	;;#ASMSTART
	s_wakeup
	;;#ASMEND
                                        ; implicit-def: $vgpr8_vgpr9
	s_and_saveexec_b64 s[58:59], vcc
	s_cbranch_execz .LBB6_691
; %bb.688:                              ;   in Loop: Header=BB6_671 Depth=1
	v_mad_u64_u32 v[17:18], s[20:21], v19, 24, v[6:7]
	v_lshlrev_b32_e32 v10, 1, v54
	flat_load_dword v8, v[17:18]
	s_nop 0
	flat_store_dwordx2 v[17:18], v[10:11] offset:8
	s_waitcnt vmcnt(0) lgkmcnt(0)
	v_cmp_ne_u32_e32 vcc, 1, v8
	v_cmp_eq_u32_e64 s[20:21], 1, v8
                                        ; implicit-def: $vgpr8_vgpr9
	s_and_saveexec_b64 s[60:61], s[20:21]
	s_cbranch_execz .LBB6_690
; %bb.689:                              ;   in Loop: Header=BB6_671 Depth=1
	flat_load_dword v8, v[17:18] offset:4 glc
	s_waitcnt vmcnt(0) lgkmcnt(0)
	v_ashrrev_i32_e32 v9, 31, v8
	v_lshrrev_b64 v[8:9], 1, v[8:9]
.LBB6_690:                              ;   in Loop: Header=BB6_671 Depth=1
	s_or_b64 exec, exec, s[60:61]
	s_orn2_b64 s[20:21], vcc, exec
.LBB6_691:                              ;   in Loop: Header=BB6_671 Depth=1
	s_or_b64 exec, exec, s[58:59]
	s_and_saveexec_b64 s[58:59], s[20:21]
; %bb.692:                              ;   in Loop: Header=BB6_671 Depth=1
	v_mad_i64_i32 v[8:9], s[20:21], v19, v57, 0
; %bb.693:                              ;   in Loop: Header=BB6_671 Depth=1
	s_or_b64 exec, exec, s[58:59]
	v_lshlrev_b64 v[8:9], 1, v[8:9]
	v_add_co_u32_e32 v8, vcc, v0, v8
	v_addc_co_u32_e32 v9, vcc, v1, v9, vcc
	ds_write_b64 v0, v[8:9] offset:784
	v_and_b32_e32 v8, 0x2000, v60
	v_cmp_ne_u32_e32 vcc, 0, v8
	s_and_saveexec_b64 s[20:21], vcc
	s_cbranch_execz .LBB6_695
; %bb.694:                              ;   in Loop: Header=BB6_671 Depth=1
	ds_read_b64 v[8:9], v0 offset:872
	s_waitcnt lgkmcnt(0)
	v_add_co_u32_e32 v8, vcc, 1, v8
	v_addc_co_u32_e32 v9, vcc, 0, v9, vcc
	ds_write_b64 v0, v[8:9] offset:872
.LBB6_695:                              ;   in Loop: Header=BB6_671 Depth=1
	s_or_b64 exec, exec, s[20:21]
	v_mov_b32_e32 v8, v15
	v_mov_b32_e32 v9, v16
.LBB6_696:                              ;   in Loop: Header=BB6_671 Depth=1
	s_or_b64 exec, exec, s[56:57]
	s_and_saveexec_b64 s[20:21], s[10:11]
	s_cbranch_execz .LBB6_715
; %bb.697:                              ;   in Loop: Header=BB6_671 Depth=1
	s_and_saveexec_b64 s[56:57], s[28:29]
	s_xor_b64 s[56:57], exec, s[56:57]
	s_cbranch_execz .LBB6_712
; %bb.698:                              ;   in Loop: Header=BB6_671 Depth=1
	s_and_saveexec_b64 s[58:59], s[12:13]
	s_cbranch_execz .LBB6_711
; %bb.699:                              ;   in Loop: Header=BB6_671 Depth=1
	s_mov_b64 s[62:63], exec
	v_mbcnt_lo_u32_b32 v10, s62, 0
	v_mbcnt_hi_u32_b32 v10, s63, v10
	v_cmp_eq_u32_e32 vcc, 0, v10
	s_waitcnt vmcnt(0) lgkmcnt(0)
	buffer_wbinvl1_vol
	s_and_saveexec_b64 s[60:61], vcc
	s_cbranch_execz .LBB6_701
; %bb.700:                              ;   in Loop: Header=BB6_671 Depth=1
	s_bcnt1_i32_b64 s62, s[62:63]
	v_mov_b32_e32 v10, s62
	ds_add_u64 v0, v[10:11]
	s_trap 2
.LBB6_701:                              ;   in Loop: Header=BB6_671 Depth=1
	s_or_b64 exec, exec, s[60:61]
	s_trap 2
	ds_read_b64 v[15:16], v0
	s_waitcnt lgkmcnt(0)
	v_add_co_u32_e32 v26, vcc, v26, v2
	v_addc_co_u32_e32 v27, vcc, 0, v27, vcc
	v_cmp_lt_u64_e32 vcc, v[15:16], v[26:27]
	s_and_saveexec_b64 s[60:61], vcc
	s_cbranch_execz .LBB6_710
; %bb.702:                              ;   in Loop: Header=BB6_671 Depth=1
	s_mov_b32 s90, 0
	s_mov_b64 s[62:63], 0
                                        ; implicit-def: $sgpr72_sgpr73
                                        ; implicit-def: $sgpr74_sgpr75
	s_branch .LBB6_704
.LBB6_703:                              ;   in Loop: Header=BB6_704 Depth=2
	s_or_b64 exec, exec, s[78:79]
	s_and_b64 s[76:77], exec, s[88:89]
	s_or_b64 s[62:63], s[76:77], s[62:63]
	s_andn2_b64 s[72:73], s[72:73], exec
	s_and_b64 s[76:77], s[74:75], exec
	s_or_b64 s[72:73], s[72:73], s[76:77]
	s_andn2_b64 exec, exec, s[62:63]
	s_cbranch_execz .LBB6_708
.LBB6_704:                              ;   Parent Loop BB6_671 Depth=1
                                        ; =>  This Inner Loop Header: Depth=2
	s_add_i32 s90, s90, 1
	s_cmpk_lg_i32 s90, 0x2710
	s_cselect_b64 s[76:77], -1, 0
	s_and_b64 vcc, exec, s[76:77]
	s_cbranch_vccz .LBB6_706
; %bb.705:                              ;   in Loop: Header=BB6_704 Depth=2
	s_mov_b64 s[88:89], -1
	s_or_b64 s[74:75], s[74:75], exec
	s_and_saveexec_b64 s[78:79], s[76:77]
	s_cbranch_execz .LBB6_703
	s_branch .LBB6_707
.LBB6_706:                              ;   in Loop: Header=BB6_704 Depth=2
	s_trap 2
	ds_read_b64 v[15:16], v0
	s_andn2_b64 s[76:77], s[76:77], exec
	s_mov_b32 s90, 0
	s_waitcnt lgkmcnt(0)
	flat_load_dword v10, v[15:16] glc
	s_waitcnt vmcnt(0) lgkmcnt(0)
	buffer_wbinvl1_vol
	v_cmp_eq_u32_e32 vcc, 0, v10
	s_and_b64 s[78:79], vcc, exec
	s_or_b64 s[76:77], s[76:77], s[78:79]
	s_mov_b64 s[88:89], -1
	s_or_b64 s[74:75], s[74:75], exec
	s_and_saveexec_b64 s[78:79], s[76:77]
	s_cbranch_execz .LBB6_703
.LBB6_707:                              ;   in Loop: Header=BB6_704 Depth=2
	s_sleep 1
	s_trap 2
	ds_read_b64 v[15:16], v0
	s_waitcnt lgkmcnt(0)
	s_andn2_b64 s[74:75], s[74:75], exec
	v_cmp_ge_u64_e32 vcc, v[15:16], v[26:27]
	s_orn2_b64 s[88:89], vcc, exec
	s_branch .LBB6_703
.LBB6_708:                              ;   in Loop: Header=BB6_671 Depth=1
	s_or_b64 exec, exec, s[62:63]
	s_and_saveexec_b64 s[62:63], s[72:73]
	s_xor_b64 s[62:63], exec, s[62:63]
	s_cbranch_execz .LBB6_710
; %bb.709:                              ;   in Loop: Header=BB6_671 Depth=1
	ds_write_b32 v0, v53
	s_trap 2
.LBB6_710:                              ;   in Loop: Header=BB6_671 Depth=1
	s_or_b64 exec, exec, s[60:61]
	;;#ASMSTART
	s_wakeup
	;;#ASMEND
.LBB6_711:                              ;   in Loop: Header=BB6_671 Depth=1
	s_or_b64 exec, exec, s[58:59]
.LBB6_712:                              ;   in Loop: Header=BB6_671 Depth=1
	s_andn2_saveexec_b64 s[56:57], s[56:57]
	s_cbranch_execz .LBB6_714
; %bb.713:                              ;   in Loop: Header=BB6_671 Depth=1
	s_waitcnt vmcnt(0) lgkmcnt(0)
	buffer_wbinvl1_vol
	s_barrier
.LBB6_714:                              ;   in Loop: Header=BB6_671 Depth=1
	s_or_b64 exec, exec, s[56:57]
.LBB6_715:                              ;   in Loop: Header=BB6_671 Depth=1
	s_or_b64 exec, exec, s[20:21]
	s_trap 2
	s_waitcnt lgkmcnt(0)
	ds_read_b32 v19, v0
	v_and_b32_e32 v10, 0x4000, v60
	v_cmp_ne_u32_e32 vcc, 0, v10
	s_and_b64 s[56:57], s[42:43], vcc
	s_and_saveexec_b64 s[20:21], s[56:57]
	s_cbranch_execz .LBB6_734
; %bb.716:                              ;   in Loop: Header=BB6_671 Depth=1
	s_and_saveexec_b64 s[56:57], s[28:29]
	s_xor_b64 s[56:57], exec, s[56:57]
	s_cbranch_execz .LBB6_731
; %bb.717:                              ;   in Loop: Header=BB6_671 Depth=1
	s_and_saveexec_b64 s[58:59], s[12:13]
	s_cbranch_execz .LBB6_730
; %bb.718:                              ;   in Loop: Header=BB6_671 Depth=1
	s_mov_b64 s[62:63], exec
	v_mbcnt_lo_u32_b32 v10, s62, 0
	v_mbcnt_hi_u32_b32 v10, s63, v10
	v_cmp_eq_u32_e32 vcc, 0, v10
	s_waitcnt vmcnt(0) lgkmcnt(0)
	buffer_wbinvl1_vol
	s_and_saveexec_b64 s[60:61], vcc
	s_cbranch_execz .LBB6_720
; %bb.719:                              ;   in Loop: Header=BB6_671 Depth=1
	s_bcnt1_i32_b64 s62, s[62:63]
	v_mov_b32_e32 v10, s62
	ds_add_u64 v0, v[10:11]
	s_trap 2
.LBB6_720:                              ;   in Loop: Header=BB6_671 Depth=1
	s_or_b64 exec, exec, s[60:61]
	s_trap 2
	ds_read_b64 v[15:16], v0
	s_waitcnt lgkmcnt(0)
	v_add_co_u32_e32 v26, vcc, v26, v2
	v_addc_co_u32_e32 v27, vcc, 0, v27, vcc
	v_cmp_lt_u64_e32 vcc, v[15:16], v[26:27]
	s_and_saveexec_b64 s[60:61], vcc
	s_cbranch_execz .LBB6_729
; %bb.721:                              ;   in Loop: Header=BB6_671 Depth=1
	s_mov_b32 s90, 0
	s_mov_b64 s[62:63], 0
                                        ; implicit-def: $sgpr72_sgpr73
                                        ; implicit-def: $sgpr74_sgpr75
	s_branch .LBB6_723
.LBB6_722:                              ;   in Loop: Header=BB6_723 Depth=2
	s_or_b64 exec, exec, s[78:79]
	s_and_b64 s[76:77], exec, s[88:89]
	s_or_b64 s[62:63], s[76:77], s[62:63]
	s_andn2_b64 s[72:73], s[72:73], exec
	s_and_b64 s[76:77], s[74:75], exec
	s_or_b64 s[72:73], s[72:73], s[76:77]
	s_andn2_b64 exec, exec, s[62:63]
	s_cbranch_execz .LBB6_727
.LBB6_723:                              ;   Parent Loop BB6_671 Depth=1
                                        ; =>  This Inner Loop Header: Depth=2
	s_add_i32 s90, s90, 1
	s_cmpk_lg_i32 s90, 0x2710
	s_cselect_b64 s[76:77], -1, 0
	s_and_b64 vcc, exec, s[76:77]
	s_cbranch_vccz .LBB6_725
; %bb.724:                              ;   in Loop: Header=BB6_723 Depth=2
	s_mov_b64 s[88:89], -1
	s_or_b64 s[74:75], s[74:75], exec
	s_and_saveexec_b64 s[78:79], s[76:77]
	s_cbranch_execz .LBB6_722
	s_branch .LBB6_726
.LBB6_725:                              ;   in Loop: Header=BB6_723 Depth=2
	s_trap 2
	ds_read_b64 v[15:16], v0
	s_andn2_b64 s[76:77], s[76:77], exec
	s_mov_b32 s90, 0
	s_waitcnt lgkmcnt(0)
	flat_load_dword v10, v[15:16] glc
	s_waitcnt vmcnt(0) lgkmcnt(0)
	buffer_wbinvl1_vol
	v_cmp_eq_u32_e32 vcc, 0, v10
	s_and_b64 s[78:79], vcc, exec
	s_or_b64 s[76:77], s[76:77], s[78:79]
	s_mov_b64 s[88:89], -1
	s_or_b64 s[74:75], s[74:75], exec
	s_and_saveexec_b64 s[78:79], s[76:77]
	s_cbranch_execz .LBB6_722
.LBB6_726:                              ;   in Loop: Header=BB6_723 Depth=2
	s_sleep 1
	s_trap 2
	ds_read_b64 v[15:16], v0
	s_waitcnt lgkmcnt(0)
	s_andn2_b64 s[74:75], s[74:75], exec
	v_cmp_ge_u64_e32 vcc, v[15:16], v[26:27]
	s_orn2_b64 s[88:89], vcc, exec
	s_branch .LBB6_722
.LBB6_727:                              ;   in Loop: Header=BB6_671 Depth=1
	s_or_b64 exec, exec, s[62:63]
	s_and_saveexec_b64 s[62:63], s[72:73]
	s_xor_b64 s[62:63], exec, s[62:63]
	s_cbranch_execz .LBB6_729
; %bb.728:                              ;   in Loop: Header=BB6_671 Depth=1
	ds_write_b32 v0, v53
	s_trap 2
.LBB6_729:                              ;   in Loop: Header=BB6_671 Depth=1
	s_or_b64 exec, exec, s[60:61]
	;;#ASMSTART
	s_wakeup
	;;#ASMEND
.LBB6_730:                              ;   in Loop: Header=BB6_671 Depth=1
	s_or_b64 exec, exec, s[58:59]
.LBB6_731:                              ;   in Loop: Header=BB6_671 Depth=1
	s_andn2_saveexec_b64 s[56:57], s[56:57]
	s_cbranch_execz .LBB6_733
; %bb.732:                              ;   in Loop: Header=BB6_671 Depth=1
	s_waitcnt vmcnt(0) lgkmcnt(0)
	buffer_wbinvl1_vol
	s_barrier
.LBB6_733:                              ;   in Loop: Header=BB6_671 Depth=1
	s_or_b64 exec, exec, s[56:57]
.LBB6_734:                              ;   in Loop: Header=BB6_671 Depth=1
	s_or_b64 exec, exec, s[20:21]
	s_trap 2
	ds_read_b64 v[15:16], v0
	s_waitcnt lgkmcnt(0)
	v_cmp_eq_u64_e32 vcc, 0, v[15:16]
	s_cbranch_vccnz .LBB6_742
; %bb.735:                              ;   in Loop: Header=BB6_671 Depth=1
	s_trap 2
	ds_read_b64 v[17:18], v0
	s_waitcnt lgkmcnt(0)
	v_cmp_eq_u64_e32 vcc, 0, v[17:18]
	s_cbranch_vccnz .LBB6_742
; %bb.736:                              ;   in Loop: Header=BB6_671 Depth=1
	s_mov_b64 s[20:21], -1
	s_and_saveexec_b64 s[56:57], s[14:15]
	s_cbranch_execz .LBB6_738
; %bb.737:                              ;   in Loop: Header=BB6_671 Depth=1
	ds_read_b32 v10, v0 offset:720
	s_waitcnt lgkmcnt(0)
	v_and_b32_e32 v10, 15, v10
	v_cmp_eq_u32_e32 vcc, 0, v10
	s_orn2_b64 s[20:21], vcc, exec
.LBB6_738:                              ;   in Loop: Header=BB6_671 Depth=1
	s_or_b64 exec, exec, s[56:57]
	s_and_saveexec_b64 s[56:57], s[16:17]
	s_cbranch_execz .LBB6_740
; %bb.739:                              ;   in Loop: Header=BB6_671 Depth=1
	ds_read_b32 v10, v0 offset:784
	s_waitcnt lgkmcnt(0)
	v_and_b32_e32 v10, 15, v10
	v_cmp_eq_u32_e32 vcc, 0, v10
	s_and_b64 s[58:59], s[20:21], vcc
	s_andn2_b64 s[20:21], s[20:21], exec
	s_and_b64 s[58:59], s[58:59], exec
	s_or_b64 s[20:21], s[20:21], s[58:59]
.LBB6_740:                              ;   in Loop: Header=BB6_671 Depth=1
	s_or_b64 exec, exec, s[56:57]
	v_cmp_eq_u32_e32 vcc, 0, v19
	s_xor_b64 s[20:21], s[20:21], -1
	v_cndmask_b32_e32 v10, 0, v54, vcc
	v_cndmask_b32_e64 v19, 0, 1, s[20:21]
	v_lshlrev_b32_e32 v28, 1, v10
	s_mov_b64 s[58:59], -1
	v_cmp_ne_u32_e32 vcc, 0, v19
	v_mov_b32_e32 v29, 0
	s_cbranch_vccz .LBB6_743
; %bb.741:                              ;   in Loop: Header=BB6_671 Depth=1
	v_mov_b32_e32 v55, v49
	v_mov_b32_e32 v43, v23
	s_and_saveexec_b64 s[20:21], s[58:59]
	s_cbranch_execnz .LBB6_756
	s_branch .LBB6_764
.LBB6_742:                              ;   in Loop: Header=BB6_671 Depth=1
	s_mov_b64 s[20:21], 0
	s_and_saveexec_b64 s[56:57], s[10:11]
	s_cbranch_execnz .LBB6_765
	s_branch .LBB6_783
.LBB6_743:                              ;   in Loop: Header=BB6_671 Depth=1
	v_lshrrev_b32_e32 v29, 11, v10
	v_sub_u32_e32 v40, v29, v23
	v_cmp_lt_i32_e32 vcc, 0, v40
	s_and_saveexec_b64 s[20:21], vcc
	s_cbranch_execz .LBB6_747
; %bb.744:                              ;   in Loop: Header=BB6_671 Depth=1
	v_mov_b32_e32 v20, v18
	v_mov_b32_e32 v22, v16
	;; [unrolled: 1-line block ×3, first 2 shown]
	s_mov_b64 s[56:57], 0
	v_mov_b32_e32 v19, v17
	v_mov_b32_e32 v21, v15
.LBB6_745:                              ;   Parent Loop BB6_671 Depth=1
                                        ; =>  This Inner Loop Header: Depth=2
	v_add_co_u32_e32 v34, vcc, v24, v21
	v_addc_co_u32_e32 v35, vcc, v25, v22, vcc
	global_load_dwordx4 v[41:44], v[34:35], off glc slc
	global_load_dwordx4 v[55:58], v[34:35], off offset:1024 glc slc
	global_load_dwordx4 v[48:51], v[34:35], off offset:2048 glc slc
	s_nop 0
	global_load_dwordx4 v[34:37], v[34:35], off offset:3072 glc slc
	v_add_co_u32_e32 v45, vcc, v24, v19
	v_addc_co_u32_e32 v46, vcc, v25, v20, vcc
	v_add_co_u32_e32 v21, vcc, v21, v30
	v_addc_co_u32_e32 v22, vcc, 0, v22, vcc
	v_add_co_u32_e32 v19, vcc, v19, v30
	v_sub_u32_e32 v40, v40, v2
	v_addc_co_u32_e32 v20, vcc, 0, v20, vcc
	v_cmp_gt_i32_e32 vcc, 1, v40
	s_or_b64 s[56:57], vcc, s[56:57]
	s_waitcnt vmcnt(0)
	global_store_dwordx4 v[45:46], v[41:44], off glc slc
	global_store_dwordx4 v[45:46], v[55:58], off offset:1024 glc slc
	global_store_dwordx4 v[45:46], v[48:51], off offset:2048 glc slc
	global_store_dwordx4 v[45:46], v[34:37], off offset:3072 glc slc
	s_andn2_b64 exec, exec, s[56:57]
	s_cbranch_execnz .LBB6_745
; %bb.746:                              ;   in Loop: Header=BB6_671 Depth=1
	s_or_b64 exec, exec, s[56:57]
	buffer_load_dword v49, off, s[0:3], s33 offset:92 ; 4-byte Folded Reload
	v_mov_b32_e32 v57, v62
.LBB6_747:                              ;   in Loop: Header=BB6_671 Depth=1
	s_or_b64 exec, exec, s[20:21]
	v_lshlrev_b32_e32 v19, 12, v29
	v_cmp_ne_u32_e32 vcc, v28, v19
	s_mov_b64 s[58:59], 0
	v_mov_b32_e32 v29, 0
                                        ; implicit-def: $vgpr55
                                        ; implicit-def: $vgpr43
	s_and_saveexec_b64 s[56:57], vcc
	s_cbranch_execz .LBB6_755
; %bb.748:                              ;   in Loop: Header=BB6_671 Depth=1
	v_lshlrev_b32_e32 v20, 6, v40
	v_sub_u32_e32 v20, v3, v20
	v_ashrrev_i32_e32 v21, 31, v20
	v_lshrrev_b32_e32 v21, 26, v21
	v_add_u32_e32 v21, v20, v21
	v_ashrrev_i32_e32 v34, 6, v21
	v_and_b32_e32 v21, 0xffffffc0, v21
	v_sub_u32_e32 v20, v20, v21
	v_sub_u32_e32 v22, v28, v19
	v_lshlrev_b32_e32 v21, 4, v20
	v_lshl_add_u32 v50, v34, 10, v21
	v_ashrrev_i32_e32 v21, 31, v22
	v_lshrrev_b32_e32 v21, 22, v21
	v_add_u32_e32 v21, v22, v21
	v_ashrrev_i32_e32 v35, 10, v21
	v_and_b32_e32 v21, 0xfffffc00, v21
	v_sub_u32_e32 v40, v22, v21
	v_cmp_lt_i32_e32 vcc, 15, v40
	v_sub_u32_e32 v29, v22, v50
	v_addc_co_u32_e64 v22, s[20:21], 0, v35, vcc
	v_sub_u32_e32 v22, v22, v34
	v_cmp_lt_i32_e64 s[20:21], 15, v29
	s_and_saveexec_b64 s[58:59], s[20:21]
	s_cbranch_execz .LBB6_752
; %bb.749:                              ;   in Loop: Header=BB6_671 Depth=1
	v_add_u32_e32 v55, v50, v19
	v_ashrrev_i32_e32 v41, 31, v55
	s_mov_b64 s[60:61], 0
.LBB6_750:                              ;   Parent Loop BB6_671 Depth=1
                                        ; =>  This Inner Loop Header: Depth=2
	v_add_co_u32_e64 v34, s[20:21], v15, v55
	v_addc_co_u32_e64 v35, s[20:21], v16, v41, s[20:21]
	global_load_dwordx4 v[34:37], v[34:35], off glc slc
	v_add_co_u32_e64 v48, s[20:21], v17, v55
	s_waitcnt vmcnt(0)
	v_addc_co_u32_e64 v49, s[20:21], v18, v41, s[20:21]
	v_add_co_u32_e64 v55, s[20:21], v55, v59
	v_sub_u32_e32 v29, v29, v59
	v_addc_co_u32_e64 v41, s[20:21], 0, v41, s[20:21]
	v_cmp_gt_i32_e64 s[20:21], 16, v29
	v_sub_u32_e32 v22, v22, v2
	s_or_b64 s[60:61], s[20:21], s[60:61]
	global_store_dwordx4 v[48:49], v[34:37], off glc slc
	s_andn2_b64 exec, exec, s[60:61]
	s_cbranch_execnz .LBB6_750
; %bb.751:                              ;   in Loop: Header=BB6_671 Depth=1
	s_or_b64 exec, exec, s[60:61]
	buffer_load_dword v49, off, s[0:3], s33 offset:92 ; 4-byte Folded Reload
.LBB6_752:                              ;   in Loop: Header=BB6_671 Depth=1
	s_or_b64 exec, exec, s[58:59]
	v_and_b32_e32 v50, 14, v28
	v_cndmask_b32_e32 v28, v40, v50, vcc
	v_mov_b32_e32 v29, 0
	v_cmp_ne_u32_e64 s[20:21], 0, v28
	s_mov_b64 s[58:59], 0
                                        ; implicit-def: $vgpr55
                                        ; implicit-def: $vgpr43
	s_and_saveexec_b64 s[60:61], s[20:21]
	s_cbranch_execz .LBB6_754
; %bb.753:                              ;   in Loop: Header=BB6_671 Depth=1
	v_sub_u32_e32 v29, v40, v50
	v_cndmask_b32_e32 v29, 0, v29, vcc
	v_cmp_lt_i32_e32 vcc, 0, v22
	v_add3_u32 v29, v21, v19, v29
	v_cndmask_b32_e32 v19, 0, v2, vcc
	v_sub_u32_e32 v19, v19, v22
	v_lshl_add_u32 v55, v19, 6, v20
	v_ashrrev_i32_e32 v19, 31, v55
	v_lshrrev_b32_e32 v19, 26, v19
	v_add_u32_e32 v19, v55, v19
	s_mov_b64 s[58:59], exec
	v_ashrrev_i32_e32 v43, 6, v19
.LBB6_754:                              ;   in Loop: Header=BB6_671 Depth=1
	s_or_b64 exec, exec, s[60:61]
	s_and_b64 s[58:59], s[58:59], exec
.LBB6_755:                              ;   in Loop: Header=BB6_671 Depth=1
	s_or_b64 exec, exec, s[56:57]
	s_and_saveexec_b64 s[20:21], s[58:59]
	s_cbranch_execz .LBB6_764
.LBB6_756:                              ;   in Loop: Header=BB6_671 Depth=1
	v_ashrrev_i32_e32 v19, 31, v28
	v_lshrrev_b32_e32 v19, 22, v19
	v_add_u32_e32 v19, v28, v19
	v_ashrrev_i32_e32 v42, 10, v19
	v_sub_u32_e32 v40, v42, v43
	v_ashrrev_i32_e32 v19, 31, v55
	v_cmp_lt_i32_e32 vcc, 0, v40
	v_lshrrev_b32_e32 v41, 26, v19
	s_and_saveexec_b64 s[56:57], vcc
	s_cbranch_execz .LBB6_760
; %bb.757:                              ;   in Loop: Header=BB6_671 Depth=1
	v_add_u32_e32 v19, v55, v41
	v_and_b32_e32 v19, 0x7fffffc0, v19
	v_sub_u32_e32 v19, v55, v19
	v_lshlrev_b32_e32 v19, 1, v19
	v_lshlrev_b32_e32 v20, 10, v43
	v_add3_u32 v43, v19, v29, v20
	v_mov_b32_e32 v20, v18
	v_mov_b32_e32 v22, v16
	v_ashrrev_i32_e32 v44, 31, v43
	s_mov_b64 s[58:59], 0
	v_mov_b32_e32 v19, v17
	v_mov_b32_e32 v21, v15
.LBB6_758:                              ;   Parent Loop BB6_671 Depth=1
                                        ; =>  This Inner Loop Header: Depth=2
	v_add_co_u32_e32 v34, vcc, v43, v21
	v_addc_co_u32_e32 v35, vcc, v44, v22, vcc
	flat_load_ushort v36, v[34:35] glc slc
	flat_load_ushort v37, v[34:35] offset:128 glc slc
	flat_load_ushort v48, v[34:35] offset:256 glc slc
	s_waitcnt vmcnt(0)
	flat_load_ushort v49, v[34:35] offset:384 glc slc
	flat_load_ushort v50, v[34:35] offset:512 glc slc
	;; [unrolled: 1-line block ×5, first 2 shown]
	v_add_co_u32_e32 v34, vcc, v43, v19
	v_addc_co_u32_e32 v35, vcc, v44, v20, vcc
	v_add_co_u32_e32 v21, vcc, v21, v59
	v_addc_co_u32_e32 v22, vcc, 0, v22, vcc
	v_add_co_u32_e32 v19, vcc, v19, v59
	v_sub_u32_e32 v40, v40, v2
	v_addc_co_u32_e32 v20, vcc, 0, v20, vcc
	v_cmp_gt_i32_e32 vcc, 1, v40
	s_or_b64 s[58:59], vcc, s[58:59]
	s_waitcnt lgkmcnt(0)
	flat_store_short v[34:35], v36 glc slc
	flat_store_short v[34:35], v37 offset:128 glc slc
	flat_store_short v[34:35], v48 offset:256 glc slc
	s_waitcnt vmcnt(0)
	flat_store_short v[34:35], v49 offset:384 glc slc
	flat_store_short v[34:35], v50 offset:512 glc slc
	;; [unrolled: 1-line block ×5, first 2 shown]
	s_andn2_b64 exec, exec, s[58:59]
	s_cbranch_execnz .LBB6_758
; %bb.759:                              ;   in Loop: Header=BB6_671 Depth=1
	s_or_b64 exec, exec, s[58:59]
	buffer_load_dword v49, off, s[0:3], s33 offset:92 ; 4-byte Folded Reload
.LBB6_760:                              ;   in Loop: Header=BB6_671 Depth=1
	s_or_b64 exec, exec, s[56:57]
	v_lshlrev_b32_e32 v19, 10, v42
	v_cmp_ne_u32_e32 vcc, v28, v19
	s_and_b64 exec, exec, vcc
	s_cbranch_execz .LBB6_764
; %bb.761:                              ;   in Loop: Header=BB6_671 Depth=1
	v_add_u32_e32 v20, v55, v41
	v_and_b32_e32 v20, 0xffffffc0, v20
	v_sub_u32_e32 v20, v55, v20
	v_lshlrev_b32_e32 v21, 6, v40
	v_sub_u32_e32 v20, v20, v21
	v_ashrrev_i32_e32 v21, 31, v20
	v_lshrrev_b32_e32 v21, 26, v21
	v_add_u32_e32 v21, v20, v21
	v_and_b32_e32 v22, 0x7fffffc0, v21
	v_sub_u32_e32 v20, v20, v22
	v_lshlrev_b32_e32 v21, 1, v21
	v_and_b32_e32 v21, 0xffffff80, v21
	v_lshlrev_b32_e32 v20, 1, v20
	v_add3_u32 v20, v21, v20, v19
	v_sub_u32_e32 v19, v28, v20
	v_cmp_lt_i32_e32 vcc, 1, v19
	s_and_b64 exec, exec, vcc
	s_cbranch_execz .LBB6_764
; %bb.762:                              ;   in Loop: Header=BB6_671 Depth=1
	v_add_u32_e32 v20, v20, v29
	v_ashrrev_i32_e32 v21, 31, v20
	s_mov_b64 s[56:57], 0
.LBB6_763:                              ;   Parent Loop BB6_671 Depth=1
                                        ; =>  This Inner Loop Header: Depth=2
	v_add_co_u32_e32 v28, vcc, v15, v20
	v_addc_co_u32_e32 v29, vcc, v16, v21, vcc
	flat_load_ushort v22, v[28:29] glc slc
	v_add_co_u32_e32 v28, vcc, v17, v20
	v_addc_co_u32_e32 v29, vcc, v18, v21, vcc
	v_add_co_u32_e32 v20, vcc, v20, v52
	v_sub_u32_e32 v19, v19, v52
	v_addc_co_u32_e32 v21, vcc, 0, v21, vcc
	v_cmp_gt_i32_e32 vcc, 2, v19
	s_or_b64 s[56:57], vcc, s[56:57]
	s_waitcnt vmcnt(0) lgkmcnt(0)
	flat_store_short v[28:29], v22 glc slc
	s_andn2_b64 exec, exec, s[56:57]
	s_cbranch_execnz .LBB6_763
.LBB6_764:                              ;   in Loop: Header=BB6_671 Depth=1
	s_or_b64 exec, exec, s[20:21]
	buffer_load_dword v34, off, s[0:3], s33 offset:76 ; 4-byte Folded Reload
	buffer_load_dword v35, off, s[0:3], s33 offset:80 ; 4-byte Folded Reload
	;; [unrolled: 1-line block ×4, first 2 shown]
	v_cmp_ne_u32_e64 s[20:21], 0, v10
	s_and_saveexec_b64 s[56:57], s[10:11]
	s_cbranch_execz .LBB6_783
.LBB6_765:                              ;   in Loop: Header=BB6_671 Depth=1
	s_and_saveexec_b64 s[58:59], s[28:29]
	s_xor_b64 s[58:59], exec, s[58:59]
	s_cbranch_execz .LBB6_780
; %bb.766:                              ;   in Loop: Header=BB6_671 Depth=1
	s_and_saveexec_b64 s[60:61], s[12:13]
	s_cbranch_execz .LBB6_779
; %bb.767:                              ;   in Loop: Header=BB6_671 Depth=1
	s_mov_b64 s[72:73], exec
	v_mbcnt_lo_u32_b32 v10, s72, 0
	v_mbcnt_hi_u32_b32 v10, s73, v10
	v_cmp_eq_u32_e32 vcc, 0, v10
	s_waitcnt vmcnt(0) lgkmcnt(0)
	buffer_wbinvl1_vol
	s_and_saveexec_b64 s[62:63], vcc
	s_cbranch_execz .LBB6_769
; %bb.768:                              ;   in Loop: Header=BB6_671 Depth=1
	s_bcnt1_i32_b64 s72, s[72:73]
	v_mov_b32_e32 v10, s72
	ds_add_u64 v0, v[10:11]
	s_trap 2
.LBB6_769:                              ;   in Loop: Header=BB6_671 Depth=1
	s_or_b64 exec, exec, s[62:63]
	s_trap 2
	ds_read_b64 v[15:16], v0
	s_waitcnt lgkmcnt(0)
	v_add_co_u32_e32 v26, vcc, v26, v2
	v_addc_co_u32_e32 v27, vcc, 0, v27, vcc
	v_cmp_lt_u64_e32 vcc, v[15:16], v[26:27]
	s_and_saveexec_b64 s[62:63], vcc
	s_cbranch_execz .LBB6_778
; %bb.770:                              ;   in Loop: Header=BB6_671 Depth=1
	s_mov_b32 s92, 0
	s_mov_b64 s[72:73], 0
                                        ; implicit-def: $sgpr74_sgpr75
                                        ; implicit-def: $sgpr76_sgpr77
	s_branch .LBB6_772
.LBB6_771:                              ;   in Loop: Header=BB6_772 Depth=2
	s_or_b64 exec, exec, s[88:89]
	s_and_b64 s[78:79], exec, s[90:91]
	s_or_b64 s[72:73], s[78:79], s[72:73]
	s_andn2_b64 s[74:75], s[74:75], exec
	s_and_b64 s[78:79], s[76:77], exec
	s_or_b64 s[74:75], s[74:75], s[78:79]
	s_andn2_b64 exec, exec, s[72:73]
	s_cbranch_execz .LBB6_776
.LBB6_772:                              ;   Parent Loop BB6_671 Depth=1
                                        ; =>  This Inner Loop Header: Depth=2
	s_add_i32 s92, s92, 1
	s_cmpk_lg_i32 s92, 0x2710
	s_cselect_b64 s[78:79], -1, 0
	s_and_b64 vcc, exec, s[78:79]
	s_cbranch_vccz .LBB6_774
; %bb.773:                              ;   in Loop: Header=BB6_772 Depth=2
	s_mov_b64 s[90:91], -1
	s_or_b64 s[76:77], s[76:77], exec
	s_and_saveexec_b64 s[88:89], s[78:79]
	s_cbranch_execz .LBB6_771
	s_branch .LBB6_775
.LBB6_774:                              ;   in Loop: Header=BB6_772 Depth=2
	s_trap 2
	ds_read_b64 v[15:16], v0
	s_andn2_b64 s[78:79], s[78:79], exec
	s_mov_b32 s92, 0
	s_waitcnt lgkmcnt(0)
	flat_load_dword v10, v[15:16] glc
	s_waitcnt vmcnt(0) lgkmcnt(0)
	buffer_wbinvl1_vol
	v_cmp_eq_u32_e32 vcc, 0, v10
	s_and_b64 s[88:89], vcc, exec
	s_or_b64 s[78:79], s[78:79], s[88:89]
	s_mov_b64 s[90:91], -1
	s_or_b64 s[76:77], s[76:77], exec
	s_and_saveexec_b64 s[88:89], s[78:79]
	s_cbranch_execz .LBB6_771
.LBB6_775:                              ;   in Loop: Header=BB6_772 Depth=2
	s_sleep 1
	s_trap 2
	ds_read_b64 v[15:16], v0
	s_waitcnt lgkmcnt(0)
	s_andn2_b64 s[76:77], s[76:77], exec
	v_cmp_ge_u64_e32 vcc, v[15:16], v[26:27]
	s_orn2_b64 s[90:91], vcc, exec
	s_branch .LBB6_771
.LBB6_776:                              ;   in Loop: Header=BB6_671 Depth=1
	s_or_b64 exec, exec, s[72:73]
	s_and_saveexec_b64 s[72:73], s[74:75]
	s_xor_b64 s[72:73], exec, s[72:73]
	s_cbranch_execz .LBB6_778
; %bb.777:                              ;   in Loop: Header=BB6_671 Depth=1
	ds_write_b32 v0, v53
	s_trap 2
.LBB6_778:                              ;   in Loop: Header=BB6_671 Depth=1
	s_or_b64 exec, exec, s[62:63]
	;;#ASMSTART
	s_wakeup
	;;#ASMEND
.LBB6_779:                              ;   in Loop: Header=BB6_671 Depth=1
	s_or_b64 exec, exec, s[60:61]
.LBB6_780:                              ;   in Loop: Header=BB6_671 Depth=1
	s_andn2_saveexec_b64 s[58:59], s[58:59]
	s_cbranch_execz .LBB6_782
; %bb.781:                              ;   in Loop: Header=BB6_671 Depth=1
	s_waitcnt vmcnt(0) lgkmcnt(0)
	buffer_wbinvl1_vol
	s_barrier
.LBB6_782:                              ;   in Loop: Header=BB6_671 Depth=1
	s_or_b64 exec, exec, s[58:59]
.LBB6_783:                              ;   in Loop: Header=BB6_671 Depth=1
	s_or_b64 exec, exec, s[56:57]
	v_and_b32_e32 v10, 16, v60
	v_cmp_ne_u32_e32 vcc, 0, v10
	s_and_b64 s[56:57], vcc, s[20:21]
	s_and_saveexec_b64 s[20:21], s[56:57]
	s_cbranch_execz .LBB6_785
; %bb.784:                              ;   in Loop: Header=BB6_671 Depth=1
	s_waitcnt vmcnt(0) lgkmcnt(0)
	buffer_wbinvl1_vol
.LBB6_785:                              ;   in Loop: Header=BB6_671 Depth=1
	s_or_b64 exec, exec, s[20:21]
	v_cmp_ne_u32_e32 vcc, 0, v10
	s_and_saveexec_b64 s[20:21], vcc
	s_cbranch_execz .LBB6_789
; %bb.786:                              ;   in Loop: Header=BB6_671 Depth=1
	s_and_saveexec_b64 s[56:57], s[18:19]
	s_cbranch_execz .LBB6_788
; %bb.787:                              ;   in Loop: Header=BB6_671 Depth=1
	buffer_load_dword v15, off, s[0:3], s33 offset:68 ; 4-byte Folded Reload
	buffer_load_dword v16, off, s[0:3], s33 offset:72 ; 4-byte Folded Reload
	s_waitcnt vmcnt(0)
	flat_store_dword v[15:16], v53
.LBB6_788:                              ;   in Loop: Header=BB6_671 Depth=1
	s_or_b64 exec, exec, s[56:57]
	v_add_co_u32_e32 v8, vcc, 1, v8
	v_addc_co_u32_e32 v9, vcc, 0, v9, vcc
	flat_store_dwordx2 v[32:33], v[8:9]
.LBB6_789:                              ;   in Loop: Header=BB6_671 Depth=1
	s_or_b64 exec, exec, s[20:21]
	v_mov_b32_e32 v10, v54
.LBB6_790:                              ;   in Loop: Header=BB6_671 Depth=1
	s_or_b64 exec, exec, s[46:47]
	s_and_saveexec_b64 s[46:47], s[44:45]
	s_cbranch_execz .LBB6_670
; %bb.791:                              ;   in Loop: Header=BB6_671 Depth=1
	v_sub_u32_e32 v10, v14, v10
	v_min_i32_e32 v14, v54, v10
	v_and_b32_e32 v10, 8, v60
	v_cmp_ne_u32_e32 vcc, 0, v10
	s_and_saveexec_b64 s[44:45], vcc
	s_cbranch_execz .LBB6_813
; %bb.792:                              ;   in Loop: Header=BB6_671 Depth=1
	s_waitcnt vmcnt(0)
	v_add_co_u32_e32 v18, vcc, 8, v38
	v_addc_co_u32_e32 v19, vcc, 0, v39, vcc
	s_waitcnt lgkmcnt(0)
	v_add_co_u32_e32 v16, vcc, 1, v8
	v_addc_co_u32_e32 v17, vcc, 0, v9, vcc
	v_cmp_lt_u64_e32 vcc, v[18:19], v[16:17]
	s_and_saveexec_b64 s[56:57], vcc
	s_cbranch_execz .LBB6_804
; %bb.793:                              ;   in Loop: Header=BB6_671 Depth=1
	v_and_b32_e32 v9, 64, v60
	s_mov_b32 s92, 0
	v_cmp_eq_u32_e32 vcc, 0, v9
	s_mov_b64 s[58:59], 0
                                        ; implicit-def: $sgpr60_sgpr61
                                        ; implicit-def: $sgpr62_sgpr63
                                        ; implicit-def: $sgpr72_sgpr73
	s_branch .LBB6_797
.LBB6_794:                              ;   in Loop: Header=BB6_797 Depth=2
	s_waitcnt vmcnt(0) lgkmcnt(0)
	v_add_co_u32_e64 v18, s[20:21], 8, v38
	v_addc_co_u32_e64 v19, s[20:21], 0, v39, s[20:21]
	v_cmp_ge_u64_e64 s[20:21], v[18:19], v[16:17]
	s_or_b64 s[78:79], s[78:79], exec
	s_orn2_b64 s[76:77], s[20:21], exec
.LBB6_795:                              ;   in Loop: Header=BB6_797 Depth=2
	s_or_b64 exec, exec, s[90:91]
	s_andn2_b64 s[20:21], s[72:73], exec
	s_and_b64 s[72:73], s[78:79], exec
	s_or_b64 s[72:73], s[20:21], s[72:73]
	s_andn2_b64 s[20:21], s[62:63], exec
	s_and_b64 s[62:63], s[76:77], exec
	s_or_b64 s[62:63], s[20:21], s[62:63]
.LBB6_796:                              ;   in Loop: Header=BB6_797 Depth=2
	s_or_b64 exec, exec, s[74:75]
	s_and_b64 s[20:21], exec, s[62:63]
	s_or_b64 s[58:59], s[20:21], s[58:59]
	s_andn2_b64 s[20:21], s[60:61], exec
	s_and_b64 s[60:61], s[72:73], exec
	s_or_b64 s[60:61], s[20:21], s[60:61]
	s_andn2_b64 exec, exec, s[58:59]
	s_cbranch_execz .LBB6_801
.LBB6_797:                              ;   Parent Loop BB6_671 Depth=1
                                        ; =>  This Inner Loop Header: Depth=2
	s_sleep 1
	s_waitcnt vmcnt(0) lgkmcnt(0)
	flat_load_dwordx2 v[38:39], v[32:33] glc
	s_or_b64 s[72:73], s[72:73], exec
	s_or_b64 s[62:63], s[62:63], exec
                                        ; implicit-def: $vgpr9
	s_and_saveexec_b64 s[74:75], vcc
	s_cbranch_execz .LBB6_796
; %bb.798:                              ;   in Loop: Header=BB6_797 Depth=2
	s_cmpk_lt_i32 s92, 0x270f
	s_cselect_b64 s[88:89], -1, 0
	s_cmpk_gt_i32 s92, 0x270e
	s_mov_b64 s[76:77], -1
	s_cbranch_scc0 .LBB6_800
; %bb.799:                              ;   in Loop: Header=BB6_797 Depth=2
	s_trap 2
	ds_read_b64 v[9:10], v0
	s_andn2_b64 s[88:89], s[88:89], exec
	s_mov_b32 s92, 0
	s_mov_b64 s[78:79], 0
	s_waitcnt vmcnt(0) lgkmcnt(0)
	flat_load_dword v9, v[9:10] glc
	s_waitcnt vmcnt(0) lgkmcnt(0)
	buffer_wbinvl1_vol
	v_cmp_eq_u32_e64 s[20:21], 0, v9
	s_and_b64 s[20:21], s[20:21], exec
	s_or_b64 s[88:89], s[88:89], s[20:21]
	s_and_saveexec_b64 s[90:91], s[88:89]
	s_cbranch_execz .LBB6_795
	s_branch .LBB6_794
.LBB6_800:                              ;   in Loop: Header=BB6_797 Depth=2
	s_add_i32 s92, s92, 1
	s_mov_b64 s[78:79], -1
                                        ; implicit-def: $vgpr9
	s_and_saveexec_b64 s[90:91], s[88:89]
	s_cbranch_execz .LBB6_795
	s_branch .LBB6_794
.LBB6_801:                              ;   in Loop: Header=BB6_671 Depth=1
	s_or_b64 exec, exec, s[58:59]
	s_xor_b64 s[20:21], s[60:61], -1
	s_and_saveexec_b64 s[58:59], s[20:21]
	s_xor_b64 s[20:21], exec, s[58:59]
	s_cbranch_execz .LBB6_803
; %bb.802:                              ;   in Loop: Header=BB6_671 Depth=1
	v_or_b32_e32 v60, 64, v60
	s_waitcnt lgkmcnt(0)
	ds_write_b32 v0, v9
	s_trap 2
.LBB6_803:                              ;   in Loop: Header=BB6_671 Depth=1
	s_or_b64 exec, exec, s[20:21]
.LBB6_804:                              ;   in Loop: Header=BB6_671 Depth=1
	s_or_b64 exec, exec, s[56:57]
	v_and_b32_e32 v9, 0x100, v60
	v_cmp_ne_u32_e32 vcc, 0, v9
	v_and_b32_e32 v10, 7, v8
	s_mov_b64 s[20:21], -1
	;;#ASMSTART
	s_wakeup
	;;#ASMEND
                                        ; implicit-def: $vgpr8_vgpr9
	s_and_saveexec_b64 s[56:57], vcc
	s_cbranch_execz .LBB6_808
; %bb.805:                              ;   in Loop: Header=BB6_671 Depth=1
	v_mad_u64_u32 v[18:19], s[20:21], v10, 24, v[6:7]
	v_ashrrev_i32_e32 v15, 31, v14
	v_lshlrev_b64 v[8:9], 1, v[14:15]
	flat_load_dword v20, v[18:19]
	s_waitcnt vmcnt(0) lgkmcnt(0)
	v_cmp_ne_u32_e32 vcc, 1, v20
	v_cmp_eq_u32_e64 s[20:21], 1, v20
	flat_store_dwordx2 v[18:19], v[8:9] offset:8
                                        ; implicit-def: $vgpr8_vgpr9
	s_and_saveexec_b64 s[58:59], s[20:21]
	s_cbranch_execz .LBB6_807
; %bb.806:                              ;   in Loop: Header=BB6_671 Depth=1
	flat_load_dword v8, v[18:19] offset:4 glc
	s_waitcnt vmcnt(0) lgkmcnt(0)
	v_ashrrev_i32_e32 v9, 31, v8
	v_lshrrev_b64 v[8:9], 1, v[8:9]
.LBB6_807:                              ;   in Loop: Header=BB6_671 Depth=1
	s_or_b64 exec, exec, s[58:59]
	s_orn2_b64 s[20:21], vcc, exec
.LBB6_808:                              ;   in Loop: Header=BB6_671 Depth=1
	s_or_b64 exec, exec, s[56:57]
	s_and_saveexec_b64 s[56:57], s[20:21]
; %bb.809:                              ;   in Loop: Header=BB6_671 Depth=1
	v_mad_i64_i32 v[8:9], s[20:21], v10, v57, 0
; %bb.810:                              ;   in Loop: Header=BB6_671 Depth=1
	s_or_b64 exec, exec, s[56:57]
	v_lshlrev_b64 v[8:9], 1, v[8:9]
	v_add_co_u32_e32 v8, vcc, v0, v8
	v_addc_co_u32_e32 v9, vcc, v1, v9, vcc
	ds_write_b64 v0, v[8:9] offset:784
	v_and_b32_e32 v8, 0x2000, v60
	v_cmp_ne_u32_e32 vcc, 0, v8
	s_and_saveexec_b64 s[20:21], vcc
	s_cbranch_execz .LBB6_812
; %bb.811:                              ;   in Loop: Header=BB6_671 Depth=1
	ds_read_b64 v[8:9], v0 offset:872
	s_waitcnt lgkmcnt(0)
	v_add_co_u32_e32 v8, vcc, 1, v8
	v_addc_co_u32_e32 v9, vcc, 0, v9, vcc
	ds_write_b64 v0, v[8:9] offset:872
.LBB6_812:                              ;   in Loop: Header=BB6_671 Depth=1
	s_or_b64 exec, exec, s[20:21]
	v_mov_b32_e32 v8, v16
	v_mov_b32_e32 v9, v17
.LBB6_813:                              ;   in Loop: Header=BB6_671 Depth=1
	s_or_b64 exec, exec, s[44:45]
	s_and_saveexec_b64 s[20:21], s[10:11]
	s_cbranch_execz .LBB6_832
; %bb.814:                              ;   in Loop: Header=BB6_671 Depth=1
	s_and_saveexec_b64 s[44:45], s[28:29]
	s_xor_b64 s[44:45], exec, s[44:45]
	s_cbranch_execz .LBB6_829
; %bb.815:                              ;   in Loop: Header=BB6_671 Depth=1
	s_and_saveexec_b64 s[56:57], s[12:13]
	s_cbranch_execz .LBB6_828
; %bb.816:                              ;   in Loop: Header=BB6_671 Depth=1
	s_mov_b64 s[60:61], exec
	v_mbcnt_lo_u32_b32 v10, s60, 0
	v_mbcnt_hi_u32_b32 v10, s61, v10
	v_cmp_eq_u32_e32 vcc, 0, v10
	s_waitcnt vmcnt(0) lgkmcnt(0)
	buffer_wbinvl1_vol
	s_and_saveexec_b64 s[58:59], vcc
	s_cbranch_execz .LBB6_818
; %bb.817:                              ;   in Loop: Header=BB6_671 Depth=1
	s_bcnt1_i32_b64 s60, s[60:61]
	v_mov_b32_e32 v10, s60
	ds_add_u64 v0, v[10:11]
	s_trap 2
.LBB6_818:                              ;   in Loop: Header=BB6_671 Depth=1
	s_or_b64 exec, exec, s[58:59]
	s_trap 2
	ds_read_b64 v[15:16], v0
	s_waitcnt lgkmcnt(0)
	v_add_co_u32_e32 v26, vcc, v26, v2
	v_addc_co_u32_e32 v27, vcc, 0, v27, vcc
	v_cmp_lt_u64_e32 vcc, v[15:16], v[26:27]
	s_and_saveexec_b64 s[58:59], vcc
	s_cbranch_execz .LBB6_827
; %bb.819:                              ;   in Loop: Header=BB6_671 Depth=1
	s_mov_b32 s88, 0
	s_mov_b64 s[60:61], 0
                                        ; implicit-def: $sgpr62_sgpr63
                                        ; implicit-def: $sgpr72_sgpr73
	s_branch .LBB6_821
.LBB6_820:                              ;   in Loop: Header=BB6_821 Depth=2
	s_or_b64 exec, exec, s[76:77]
	s_and_b64 s[74:75], exec, s[78:79]
	s_or_b64 s[60:61], s[74:75], s[60:61]
	s_andn2_b64 s[62:63], s[62:63], exec
	s_and_b64 s[74:75], s[72:73], exec
	s_or_b64 s[62:63], s[62:63], s[74:75]
	s_andn2_b64 exec, exec, s[60:61]
	s_cbranch_execz .LBB6_825
.LBB6_821:                              ;   Parent Loop BB6_671 Depth=1
                                        ; =>  This Inner Loop Header: Depth=2
	s_add_i32 s88, s88, 1
	s_cmpk_lg_i32 s88, 0x2710
	s_cselect_b64 s[74:75], -1, 0
	s_and_b64 vcc, exec, s[74:75]
	s_cbranch_vccz .LBB6_823
; %bb.822:                              ;   in Loop: Header=BB6_821 Depth=2
	s_mov_b64 s[78:79], -1
	s_or_b64 s[72:73], s[72:73], exec
	s_and_saveexec_b64 s[76:77], s[74:75]
	s_cbranch_execz .LBB6_820
	s_branch .LBB6_824
.LBB6_823:                              ;   in Loop: Header=BB6_821 Depth=2
	s_trap 2
	ds_read_b64 v[15:16], v0
	s_andn2_b64 s[74:75], s[74:75], exec
	s_mov_b32 s88, 0
	s_waitcnt lgkmcnt(0)
	flat_load_dword v10, v[15:16] glc
	s_waitcnt vmcnt(0) lgkmcnt(0)
	buffer_wbinvl1_vol
	v_cmp_eq_u32_e32 vcc, 0, v10
	s_and_b64 s[76:77], vcc, exec
	s_or_b64 s[74:75], s[74:75], s[76:77]
	s_mov_b64 s[78:79], -1
	s_or_b64 s[72:73], s[72:73], exec
	s_and_saveexec_b64 s[76:77], s[74:75]
	s_cbranch_execz .LBB6_820
.LBB6_824:                              ;   in Loop: Header=BB6_821 Depth=2
	s_sleep 1
	s_trap 2
	ds_read_b64 v[15:16], v0
	s_waitcnt lgkmcnt(0)
	s_andn2_b64 s[72:73], s[72:73], exec
	v_cmp_ge_u64_e32 vcc, v[15:16], v[26:27]
	s_orn2_b64 s[78:79], vcc, exec
	s_branch .LBB6_820
.LBB6_825:                              ;   in Loop: Header=BB6_671 Depth=1
	s_or_b64 exec, exec, s[60:61]
	s_and_saveexec_b64 s[60:61], s[62:63]
	s_xor_b64 s[60:61], exec, s[60:61]
	s_cbranch_execz .LBB6_827
; %bb.826:                              ;   in Loop: Header=BB6_671 Depth=1
	ds_write_b32 v0, v53
	s_trap 2
.LBB6_827:                              ;   in Loop: Header=BB6_671 Depth=1
	s_or_b64 exec, exec, s[58:59]
	;;#ASMSTART
	s_wakeup
	;;#ASMEND
.LBB6_828:                              ;   in Loop: Header=BB6_671 Depth=1
	s_or_b64 exec, exec, s[56:57]
.LBB6_829:                              ;   in Loop: Header=BB6_671 Depth=1
	s_andn2_saveexec_b64 s[44:45], s[44:45]
	s_cbranch_execz .LBB6_831
; %bb.830:                              ;   in Loop: Header=BB6_671 Depth=1
	s_waitcnt vmcnt(0) lgkmcnt(0)
	buffer_wbinvl1_vol
	s_barrier
.LBB6_831:                              ;   in Loop: Header=BB6_671 Depth=1
	s_or_b64 exec, exec, s[44:45]
.LBB6_832:                              ;   in Loop: Header=BB6_671 Depth=1
	s_or_b64 exec, exec, s[20:21]
	s_trap 2
	s_waitcnt lgkmcnt(0)
	ds_read_b32 v15, v0
	v_cmp_lt_i32_e32 vcc, 0, v14
	v_and_b32_e32 v10, 16, v60
	s_waitcnt lgkmcnt(0)
	v_readfirstlane_b32 s20, v15
	s_cmp_eq_u32 s20, 0
	s_cselect_b64 s[20:21], -1, 0
	s_and_b64 s[20:21], vcc, s[20:21]
	v_cmp_ne_u32_e32 vcc, 0, v10
	s_and_b64 s[44:45], vcc, s[20:21]
	s_and_saveexec_b64 s[20:21], s[44:45]
	s_cbranch_execz .LBB6_834
; %bb.833:                              ;   in Loop: Header=BB6_671 Depth=1
	s_waitcnt vmcnt(0)
	buffer_wbinvl1_vol
.LBB6_834:                              ;   in Loop: Header=BB6_671 Depth=1
	s_or_b64 exec, exec, s[20:21]
	v_cmp_ne_u32_e32 vcc, 0, v10
	s_and_saveexec_b64 s[20:21], vcc
	s_cbranch_execz .LBB6_669
; %bb.835:                              ;   in Loop: Header=BB6_671 Depth=1
	s_and_saveexec_b64 s[44:45], s[18:19]
	s_cbranch_execz .LBB6_668
; %bb.836:                              ;   in Loop: Header=BB6_671 Depth=1
	buffer_load_dword v14, off, s[0:3], s33 offset:68 ; 4-byte Folded Reload
	buffer_load_dword v15, off, s[0:3], s33 offset:72 ; 4-byte Folded Reload
	s_waitcnt vmcnt(0)
	flat_store_dword v[14:15], v53
	s_branch .LBB6_668
.LBB6_837:
	s_or_b64 exec, exec, s[40:41]
	buffer_load_dword v28, off, s[0:3], s33 offset:96 ; 4-byte Folded Reload
	buffer_load_dword v29, off, s[0:3], s33 offset:100 ; 4-byte Folded Reload
.LBB6_838:
	s_or_b64 exec, exec, s[26:27]
.LBB6_839:
	s_or_b64 exec, exec, s[24:25]
	s_waitcnt vmcnt(0) lgkmcnt(0)
	v_and_b32_e32 v0, 0x800, v60
	v_cmp_eq_u32_e32 vcc, 0, v0
	s_and_saveexec_b64 s[6:7], vcc
	s_cbranch_execz .LBB6_872
; %bb.840:
	v_and_b32_e32 v0, 48, v60
	v_cmp_ne_u32_e32 vcc, 0, v0
	s_and_saveexec_b64 s[4:5], vcc
	s_cbranch_execz .LBB6_842
; %bb.841:
	flat_store_dwordx2 v[28:29], v[8:9] offset:104
.LBB6_842:
	s_or_b64 exec, exec, s[4:5]
	s_movk_i32 s4, 0x88
	v_and_b32_e32 v0, 0x88, v60
	v_cmp_eq_u32_e32 vcc, s4, v0
	s_and_saveexec_b64 s[10:11], vcc
	s_cbranch_execz .LBB6_852
; %bb.843:
	v_add_u32_e32 v0, -1, v8
	v_and_b32_e32 v0, 7, v0
	v_mad_u64_u32 v[4:5], s[4:5], v0, 24, v[6:7]
	v_and_b32_e32 v2, 64, v60
	v_cmp_eq_u32_e64 s[4:5], 0, v2
	flat_load_dwordx2 v[0:1], v[4:5] offset:8 glc
	s_waitcnt vmcnt(0)
	s_mov_b32 s24, 0
	s_waitcnt lgkmcnt(0)
	v_cmp_ne_u64_e32 vcc, -1, v[0:1]
	s_and_b64 s[4:5], vcc, s[4:5]
	s_and_b64 exec, exec, s[4:5]
	s_cbranch_execz .LBB6_852
; %bb.844:
	s_mov_b64 s[4:5], 0
                                        ; implicit-def: $sgpr12_sgpr13
                                        ; implicit-def: $sgpr14_sgpr15
	s_branch .LBB6_847
.LBB6_845:                              ;   in Loop: Header=BB6_847 Depth=1
	flat_load_dwordx2 v[1:2], v[4:5] offset:8 glc
	s_waitcnt vmcnt(0)
	s_andn2_b64 s[14:15], s[14:15], exec
	s_waitcnt lgkmcnt(0)
	v_cmp_eq_u64_e32 vcc, -1, v[1:2]
	s_orn2_b64 s[18:19], vcc, exec
.LBB6_846:                              ;   in Loop: Header=BB6_847 Depth=1
	s_or_b64 exec, exec, s[20:21]
	s_and_b64 s[16:17], exec, s[18:19]
	s_or_b64 s[4:5], s[16:17], s[4:5]
	s_andn2_b64 s[12:13], s[12:13], exec
	s_and_b64 s[16:17], s[14:15], exec
	s_or_b64 s[12:13], s[12:13], s[16:17]
	s_andn2_b64 exec, exec, s[4:5]
	s_cbranch_execz .LBB6_850
.LBB6_847:                              ; =>This Inner Loop Header: Depth=1
	s_cmpk_lt_i32 s24, 0x270f
	s_cselect_b64 s[16:17], -1, 0
	s_and_b64 vcc, exec, s[16:17]
	s_cbranch_vccnz .LBB6_849
; %bb.848:                              ;   in Loop: Header=BB6_847 Depth=1
	s_trap 2
	ds_read_b64 v[0:1], v0
	s_andn2_b64 s[16:17], s[16:17], exec
	s_mov_b32 s24, 0
	s_waitcnt lgkmcnt(0)
	flat_load_dword v0, v[0:1] glc
	s_waitcnt vmcnt(0) lgkmcnt(0)
	buffer_wbinvl1_vol
	v_cmp_eq_u32_e32 vcc, 0, v0
	s_and_b64 s[18:19], vcc, exec
	s_or_b64 s[16:17], s[16:17], s[18:19]
	s_mov_b64 s[18:19], -1
	s_or_b64 s[14:15], s[14:15], exec
	s_and_saveexec_b64 s[20:21], s[16:17]
	s_cbranch_execz .LBB6_846
	s_branch .LBB6_845
.LBB6_849:                              ;   in Loop: Header=BB6_847 Depth=1
	s_add_i32 s24, s24, 1
                                        ; implicit-def: $vgpr0
	s_mov_b64 s[18:19], -1
	s_or_b64 s[14:15], s[14:15], exec
	s_and_saveexec_b64 s[20:21], s[16:17]
	s_cbranch_execz .LBB6_846
	s_branch .LBB6_845
.LBB6_850:
	s_or_b64 exec, exec, s[4:5]
	s_and_saveexec_b64 s[4:5], s[12:13]
	s_xor_b64 s[4:5], exec, s[4:5]
	s_cbranch_execz .LBB6_852
; %bb.851:
	ds_write_b32 v0, v0
	s_trap 2
.LBB6_852:
	s_or_b64 exec, exec, s[10:11]
	v_and_b32_e32 v0, 0x2000, v60
	v_cmp_ne_u32_e32 vcc, 0, v0
	s_and_saveexec_b64 s[4:5], vcc
	s_cbranch_execz .LBB6_854
; %bb.853:
	s_trap 2
	ds_read_b64 v[0:1], v0
	buffer_load_dword v2, off, s[0:3], s33 offset:104 ; 4-byte Folded Reload
	buffer_load_dword v3, off, s[0:3], s33 offset:108 ; 4-byte Folded Reload
	s_waitcnt vmcnt(0) lgkmcnt(0)
	flat_store_dwordx2 v[2:3], v[0:1] offset:16
.LBB6_854:
	s_or_b64 exec, exec, s[4:5]
	v_cmp_ne_u32_e32 vcc, 64, v47
	s_and_b64 exec, exec, vcc
	s_cbranch_execz .LBB6_872
; %bb.855:
	v_cmp_ne_u32_sdwa s[4:5], v47, v61 src0_sel:DWORD src1_sel:WORD_0
	s_and_saveexec_b64 s[10:11], s[4:5]
	s_xor_b64 s[4:5], exec, s[10:11]
	s_cbranch_execz .LBB6_870
; %bb.856:
	v_and_b32_e32 v0, 63, v31
	v_cmp_eq_u32_e32 vcc, 0, v0
	s_and_saveexec_b64 s[10:11], vcc
	s_cbranch_execz .LBB6_869
; %bb.857:
	s_mov_b64 s[14:15], exec
	v_mbcnt_lo_u32_b32 v0, s14, 0
	v_mbcnt_hi_u32_b32 v0, s15, v0
	v_cmp_eq_u32_e32 vcc, 0, v0
	s_waitcnt vmcnt(0) lgkmcnt(0)
	buffer_wbinvl1_vol
	s_and_saveexec_b64 s[12:13], vcc
	s_cbranch_execz .LBB6_859
; %bb.858:
	s_bcnt1_i32_b64 s14, s[14:15]
	v_mov_b32_e32 v0, s14
	v_mov_b32_e32 v1, 0
	ds_add_u64 v0, v[0:1]
	s_trap 2
.LBB6_859:
	s_or_b64 exec, exec, s[12:13]
	v_lshrrev_b32_e32 v0, 6, v47
	s_trap 2
	ds_read_b64 v[2:3], v0
	s_waitcnt lgkmcnt(0)
	v_add_co_u32_e32 v0, vcc, v26, v0
	v_addc_co_u32_e32 v1, vcc, 0, v27, vcc
	v_cmp_lt_u64_e32 vcc, v[2:3], v[0:1]
	s_and_saveexec_b64 s[12:13], vcc
	s_cbranch_execz .LBB6_868
; %bb.860:
	s_mov_b32 s28, 0
	s_mov_b64 s[14:15], 0
                                        ; implicit-def: $sgpr16_sgpr17
                                        ; implicit-def: $sgpr18_sgpr19
	s_branch .LBB6_862
.LBB6_861:                              ;   in Loop: Header=BB6_862 Depth=1
	s_or_b64 exec, exec, s[24:25]
	s_and_b64 s[20:21], exec, s[26:27]
	s_or_b64 s[14:15], s[20:21], s[14:15]
	s_andn2_b64 s[16:17], s[16:17], exec
	s_and_b64 s[20:21], s[18:19], exec
	s_or_b64 s[16:17], s[16:17], s[20:21]
	s_andn2_b64 exec, exec, s[14:15]
	s_cbranch_execz .LBB6_866
.LBB6_862:                              ; =>This Inner Loop Header: Depth=1
	s_add_i32 s28, s28, 1
	s_cmpk_lg_i32 s28, 0x2710
	s_cselect_b64 s[20:21], -1, 0
	s_and_b64 vcc, exec, s[20:21]
	s_cbranch_vccz .LBB6_864
; %bb.863:                              ;   in Loop: Header=BB6_862 Depth=1
	s_mov_b64 s[26:27], -1
	s_or_b64 s[18:19], s[18:19], exec
	s_and_saveexec_b64 s[24:25], s[20:21]
	s_cbranch_execz .LBB6_861
	s_branch .LBB6_865
.LBB6_864:                              ;   in Loop: Header=BB6_862 Depth=1
	s_trap 2
	ds_read_b64 v[2:3], v0
	s_andn2_b64 s[20:21], s[20:21], exec
	s_mov_b32 s28, 0
	s_waitcnt lgkmcnt(0)
	flat_load_dword v2, v[2:3] glc
	s_waitcnt vmcnt(0) lgkmcnt(0)
	buffer_wbinvl1_vol
	v_cmp_eq_u32_e32 vcc, 0, v2
	s_and_b64 s[24:25], vcc, exec
	s_or_b64 s[20:21], s[20:21], s[24:25]
	s_mov_b64 s[26:27], -1
	s_or_b64 s[18:19], s[18:19], exec
	s_and_saveexec_b64 s[24:25], s[20:21]
	s_cbranch_execz .LBB6_861
.LBB6_865:                              ;   in Loop: Header=BB6_862 Depth=1
	s_sleep 1
	s_trap 2
	ds_read_b64 v[2:3], v0
	s_waitcnt lgkmcnt(0)
	s_andn2_b64 s[18:19], s[18:19], exec
	v_cmp_ge_u64_e32 vcc, v[2:3], v[0:1]
	s_orn2_b64 s[26:27], vcc, exec
	s_branch .LBB6_861
.LBB6_866:
	s_or_b64 exec, exec, s[14:15]
	s_and_saveexec_b64 s[14:15], s[16:17]
	s_xor_b64 s[14:15], exec, s[14:15]
	s_cbranch_execz .LBB6_868
; %bb.867:
	v_mov_b32_e32 v0, 1
	ds_write_b32 v0, v0
	s_trap 2
.LBB6_868:
	s_or_b64 exec, exec, s[12:13]
	;;#ASMSTART
	s_wakeup
	;;#ASMEND
.LBB6_869:
	s_or_b64 exec, exec, s[10:11]
.LBB6_870:
	s_andn2_saveexec_b64 s[4:5], s[4:5]
	s_cbranch_execz .LBB6_872
; %bb.871:
	s_waitcnt vmcnt(0) lgkmcnt(0)
	buffer_wbinvl1_vol
	s_barrier
.LBB6_872:
	s_or_b64 exec, exec, s[6:7]
.LBB6_873:
	s_andn2_saveexec_b64 s[26:27], s[22:23]
	s_cbranch_execz .LBB6_875
; %bb.874:
	s_getpc_b64 s[4:5]
	s_add_u32 s4, s4, __PRETTY_FUNCTION__._ZN10PrimitivesI12hip_bfloat167FuncSumIS0_E12FanSymmetricILi1EELi0E11ProtoSimpleILi1ELi1ELi0ELi2ELi0ELi0EELi0ELb0ELi0ELi0ELi0EEC2EiiPKiS9_PKvPvmhhhP15ncclDevWorkCollP14ncclDevWorkP2pii@rel32@lo+4
	s_addc_u32 s5, s5, __PRETTY_FUNCTION__._ZN10PrimitivesI12hip_bfloat167FuncSumIS0_E12FanSymmetricILi1EELi0E11ProtoSimpleILi1ELi1ELi0ELi2ELi0ELi0EELi0ELb0ELi0ELi0ELi0EEC2EiiPKiS9_PKvPvmhhhP15ncclDevWorkCollP14ncclDevWorkP2pii@rel32@hi+12
	s_getpc_b64 s[6:7]
	s_add_u32 s6, s6, __assert_fail@rel32@lo+4
	s_addc_u32 s7, s7, __assert_fail@rel32@hi+12
	v_mov_b32_e32 v0, s4
	v_mov_b32_e32 v1, s5
	s_swappc_b64 s[30:31], s[6:7]
	; divergent unreachable
.LBB6_875:
	s_or_b64 exec, exec, s[26:27]
	buffer_load_dword v62, off, s[0:3], s33 ; 4-byte Folded Reload
	buffer_load_dword v61, off, s[0:3], s33 offset:4 ; 4-byte Folded Reload
	buffer_load_dword v60, off, s[0:3], s33 offset:8 ; 4-byte Folded Reload
	;; [unrolled: 1-line block ×14, first 2 shown]
	v_readlane_b32 s30, v63, 5
	v_readlane_b32 s31, v63, 6
	;; [unrolled: 1-line block ×7, first 2 shown]
	s_mov_b32 s32, s33
	v_readlane_b32 s4, v63, 7
	s_or_saveexec_b64 s[6:7], -1
	buffer_load_dword v63, off, s[0:3], s33 offset:132 ; 4-byte Folded Reload
	s_mov_b64 exec, s[6:7]
	s_mov_b32 s33, s4
	s_waitcnt vmcnt(0) lgkmcnt(0)
	s_setpc_b64 s[30:31]
.Lfunc_end6:
	.size	_ZN12_GLOBAL__N_17runRingI12hip_bfloat167FuncSumIS1_E11ProtoSimpleILi1ELi1ELi0ELi2ELi0ELi0EELi0ELi2ELi0EEEviiP15ncclDevWorkColl, .Lfunc_end6-_ZN12_GLOBAL__N_17runRingI12hip_bfloat167FuncSumIS1_E11ProtoSimpleILi1ELi1ELi0ELi2ELi0ELi0EELi0ELi2ELi0EEEviiP15ncclDevWorkColl
                                        ; -- End function
	.set .L_ZN12_GLOBAL__N_17runRingI12hip_bfloat167FuncSumIS1_E11ProtoSimpleILi1ELi1ELi0ELi2ELi0ELi0EELi0ELi2ELi0EEEviiP15ncclDevWorkColl.num_vgpr, max(64, .L__assert_fail.num_vgpr)
	.set .L_ZN12_GLOBAL__N_17runRingI12hip_bfloat167FuncSumIS1_E11ProtoSimpleILi1ELi1ELi0ELi2ELi0ELi0EELi0ELi2ELi0EEEviiP15ncclDevWorkColl.num_agpr, max(0, .L__assert_fail.num_agpr)
	.set .L_ZN12_GLOBAL__N_17runRingI12hip_bfloat167FuncSumIS1_E11ProtoSimpleILi1ELi1ELi0ELi2ELi0ELi0EELi0ELi2ELi0EEEviiP15ncclDevWorkColl.numbered_sgpr, max(96, .L__assert_fail.numbered_sgpr)
	.set .L_ZN12_GLOBAL__N_17runRingI12hip_bfloat167FuncSumIS1_E11ProtoSimpleILi1ELi1ELi0ELi2ELi0ELi0EELi0ELi2ELi0EEEviiP15ncclDevWorkColl.num_named_barrier, max(0, .L__assert_fail.num_named_barrier)
	.set .L_ZN12_GLOBAL__N_17runRingI12hip_bfloat167FuncSumIS1_E11ProtoSimpleILi1ELi1ELi0ELi2ELi0ELi0EELi0ELi2ELi0EEEviiP15ncclDevWorkColl.private_seg_size, 144+max(.L__assert_fail.private_seg_size)
	.set .L_ZN12_GLOBAL__N_17runRingI12hip_bfloat167FuncSumIS1_E11ProtoSimpleILi1ELi1ELi0ELi2ELi0ELi0EELi0ELi2ELi0EEEviiP15ncclDevWorkColl.uses_vcc, or(1, .L__assert_fail.uses_vcc)
	.set .L_ZN12_GLOBAL__N_17runRingI12hip_bfloat167FuncSumIS1_E11ProtoSimpleILi1ELi1ELi0ELi2ELi0ELi0EELi0ELi2ELi0EEEviiP15ncclDevWorkColl.uses_flat_scratch, or(0, .L__assert_fail.uses_flat_scratch)
	.set .L_ZN12_GLOBAL__N_17runRingI12hip_bfloat167FuncSumIS1_E11ProtoSimpleILi1ELi1ELi0ELi2ELi0ELi0EELi0ELi2ELi0EEEviiP15ncclDevWorkColl.has_dyn_sized_stack, or(0, .L__assert_fail.has_dyn_sized_stack)
	.set .L_ZN12_GLOBAL__N_17runRingI12hip_bfloat167FuncSumIS1_E11ProtoSimpleILi1ELi1ELi0ELi2ELi0ELi0EELi0ELi2ELi0EEEviiP15ncclDevWorkColl.has_recursion, or(1, .L__assert_fail.has_recursion)
	.set .L_ZN12_GLOBAL__N_17runRingI12hip_bfloat167FuncSumIS1_E11ProtoSimpleILi1ELi1ELi0ELi2ELi0ELi0EELi0ELi2ELi0EEEviiP15ncclDevWorkColl.has_indirect_call, or(0, .L__assert_fail.has_indirect_call)
	.section	.AMDGPU.csdata,"",@progbits
; Function info:
; codeLenInByte = 24512
; TotalNumSgprs: 100
; NumVgprs: 64
; ScratchSize: 208
; MemoryBound: 1
	.text
	.p2align	2                               ; -- Begin function _Z45ncclDevFunc_Reduce_RING_SIMPLE_Sum_bf16_0_0_2v
	.type	_Z45ncclDevFunc_Reduce_RING_SIMPLE_Sum_bf16_0_0_2v,@function
_Z45ncclDevFunc_Reduce_RING_SIMPLE_Sum_bf16_0_0_2v: ; @_Z45ncclDevFunc_Reduce_RING_SIMPLE_Sum_bf16_0_0_2v
; %bb.0:
	s_waitcnt vmcnt(0) expcnt(0) lgkmcnt(0)
	s_mov_b32 s4, s33
	s_mov_b32 s33, s32
	s_or_saveexec_b64 s[6:7], -1
	buffer_store_dword v43, off, s[0:3], s33 offset:16 ; 4-byte Folded Spill
	s_mov_b64 exec, s[6:7]
	v_writelane_b32 v43, s4, 13
	s_addk_i32 s32, 0x800
	buffer_store_dword v40, off, s[0:3], s33 offset:12 ; 4-byte Folded Spill
	buffer_store_dword v41, off, s[0:3], s33 offset:8 ; 4-byte Folded Spill
	;; [unrolled: 1-line block ×3, first 2 shown]
	buffer_store_dword v63, off, s[0:3], s33 ; 4-byte Folded Spill
	v_writelane_b32 v43, s34, 0
	v_writelane_b32 v43, s35, 1
	;; [unrolled: 1-line block ×13, first 2 shown]
	s_trap 2
	ds_read_b32 v0, v0
	v_mov_b32_e32 v40, v31
	s_mov_b32 s39, s12
	s_mov_b64 s[48:49], s[8:9]
	s_waitcnt lgkmcnt(0)
	v_cmp_gt_i32_e32 vcc, 1, v0
	s_cbranch_vccnz .LBB7_8
; %bb.1:
	s_mov_b32 s52, 0
	v_and_b32_e32 v41, 0x3ff, v40
	v_mov_b32_e32 v42, 6
	s_branch .LBB7_3
.LBB7_2:                                ;   in Loop: Header=BB7_3 Depth=1
	s_or_b64 exec, exec, s[50:51]
	s_trap 2
	ds_read_b32 v0, v0
	s_add_i32 s52, s52, 1
	s_waitcnt lgkmcnt(0)
	v_cmp_lt_i32_e32 vcc, s52, v0
	s_cbranch_vccz .LBB7_8
.LBB7_3:                                ; =>This Inner Loop Header: Depth=1
	s_trap 2
	ds_read_b32 v0, v0
	s_cmp_eq_u32 s52, 0
	s_cbranch_scc1 .LBB7_6
; %bb.4:                                ;   in Loop: Header=BB7_3 Depth=1
	s_trap 2
	s_waitcnt lgkmcnt(0)
	ds_read_b32 v1, v0
	s_waitcnt lgkmcnt(0)
	v_xor_b32_e32 v1, v1, v0
	v_and_b32_e32 v1, 0xff0000, v1
	v_cmp_eq_u32_e32 vcc, 0, v1
	s_cbranch_vccnz .LBB7_6
; %bb.5:                                ;   in Loop: Header=BB7_3 Depth=1
	s_waitcnt vmcnt(0)
	s_barrier
	ds_read_b32 v0, v0
.LBB7_6:                                ;   in Loop: Header=BB7_3 Depth=1
	s_waitcnt lgkmcnt(0)
	v_lshlrev_b32_sdwa v1, v42, v0 dst_sel:DWORD dst_unused:UNUSED_PAD src0_sel:DWORD src1_sel:BYTE_2
	v_cmp_lt_u32_e32 vcc, v41, v1
	s_and_saveexec_b64 s[50:51], vcc
	s_cbranch_execz .LBB7_2
; %bb.7:                                ;   in Loop: Header=BB7_3 Depth=1
	s_mov_b64 s[4:5], src_shared_base
	s_getpc_b64 s[6:7]
	s_add_u32 s6, s6, _ZN12_GLOBAL__N_17runRingI12hip_bfloat167FuncSumIS1_E11ProtoSimpleILi1ELi1ELi0ELi2ELi0ELi0EELi0ELi2ELi0EEEviiP15ncclDevWorkColl@rel32@lo+4
	s_addc_u32 s7, s7, _ZN12_GLOBAL__N_17runRingI12hip_bfloat167FuncSumIS1_E11ProtoSimpleILi1ELi1ELi0ELi2ELi0ELi0EELi0ELi2ELi0EEEviiP15ncclDevWorkColl@rel32@hi+12
	s_mov_b64 s[8:9], s[48:49]
	s_mov_b32 s12, s39
	v_mov_b32_e32 v31, v40
	v_mov_b32_e32 v0, v41
	;; [unrolled: 1-line block ×3, first 2 shown]
	s_swappc_b64 s[30:31], s[6:7]
	s_branch .LBB7_2
.LBB7_8:
	buffer_load_dword v63, off, s[0:3], s33 ; 4-byte Folded Reload
	buffer_load_dword v42, off, s[0:3], s33 offset:4 ; 4-byte Folded Reload
	buffer_load_dword v41, off, s[0:3], s33 offset:8 ; 4-byte Folded Reload
	;; [unrolled: 1-line block ×3, first 2 shown]
	v_readlane_b32 s30, v43, 11
	v_readlane_b32 s31, v43, 12
	;; [unrolled: 1-line block ×13, first 2 shown]
	s_mov_b32 s32, s33
	v_readlane_b32 s4, v43, 13
	s_or_saveexec_b64 s[6:7], -1
	buffer_load_dword v43, off, s[0:3], s33 offset:16 ; 4-byte Folded Reload
	s_mov_b64 exec, s[6:7]
	s_mov_b32 s33, s4
	s_waitcnt vmcnt(0)
	s_setpc_b64 s[30:31]
.Lfunc_end7:
	.size	_Z45ncclDevFunc_Reduce_RING_SIMPLE_Sum_bf16_0_0_2v, .Lfunc_end7-_Z45ncclDevFunc_Reduce_RING_SIMPLE_Sum_bf16_0_0_2v
                                        ; -- End function
	.set .L_Z45ncclDevFunc_Reduce_RING_SIMPLE_Sum_bf16_0_0_2v.num_vgpr, max(64, .L_ZN12_GLOBAL__N_17runRingI12hip_bfloat167FuncSumIS1_E11ProtoSimpleILi1ELi1ELi0ELi2ELi0ELi0EELi0ELi2ELi0EEEviiP15ncclDevWorkColl.num_vgpr)
	.set .L_Z45ncclDevFunc_Reduce_RING_SIMPLE_Sum_bf16_0_0_2v.num_agpr, max(0, .L_ZN12_GLOBAL__N_17runRingI12hip_bfloat167FuncSumIS1_E11ProtoSimpleILi1ELi1ELi0ELi2ELi0ELi0EELi0ELi2ELi0EEEviiP15ncclDevWorkColl.num_agpr)
	.set .L_Z45ncclDevFunc_Reduce_RING_SIMPLE_Sum_bf16_0_0_2v.numbered_sgpr, max(53, .L_ZN12_GLOBAL__N_17runRingI12hip_bfloat167FuncSumIS1_E11ProtoSimpleILi1ELi1ELi0ELi2ELi0ELi0EELi0ELi2ELi0EEEviiP15ncclDevWorkColl.numbered_sgpr)
	.set .L_Z45ncclDevFunc_Reduce_RING_SIMPLE_Sum_bf16_0_0_2v.num_named_barrier, max(0, .L_ZN12_GLOBAL__N_17runRingI12hip_bfloat167FuncSumIS1_E11ProtoSimpleILi1ELi1ELi0ELi2ELi0ELi0EELi0ELi2ELi0EEEviiP15ncclDevWorkColl.num_named_barrier)
	.set .L_Z45ncclDevFunc_Reduce_RING_SIMPLE_Sum_bf16_0_0_2v.private_seg_size, 32+max(.L_ZN12_GLOBAL__N_17runRingI12hip_bfloat167FuncSumIS1_E11ProtoSimpleILi1ELi1ELi0ELi2ELi0ELi0EELi0ELi2ELi0EEEviiP15ncclDevWorkColl.private_seg_size)
	.set .L_Z45ncclDevFunc_Reduce_RING_SIMPLE_Sum_bf16_0_0_2v.uses_vcc, or(1, .L_ZN12_GLOBAL__N_17runRingI12hip_bfloat167FuncSumIS1_E11ProtoSimpleILi1ELi1ELi0ELi2ELi0ELi0EELi0ELi2ELi0EEEviiP15ncclDevWorkColl.uses_vcc)
	.set .L_Z45ncclDevFunc_Reduce_RING_SIMPLE_Sum_bf16_0_0_2v.uses_flat_scratch, or(0, .L_ZN12_GLOBAL__N_17runRingI12hip_bfloat167FuncSumIS1_E11ProtoSimpleILi1ELi1ELi0ELi2ELi0ELi0EELi0ELi2ELi0EEEviiP15ncclDevWorkColl.uses_flat_scratch)
	.set .L_Z45ncclDevFunc_Reduce_RING_SIMPLE_Sum_bf16_0_0_2v.has_dyn_sized_stack, or(0, .L_ZN12_GLOBAL__N_17runRingI12hip_bfloat167FuncSumIS1_E11ProtoSimpleILi1ELi1ELi0ELi2ELi0ELi0EELi0ELi2ELi0EEEviiP15ncclDevWorkColl.has_dyn_sized_stack)
	.set .L_Z45ncclDevFunc_Reduce_RING_SIMPLE_Sum_bf16_0_0_2v.has_recursion, or(1, .L_ZN12_GLOBAL__N_17runRingI12hip_bfloat167FuncSumIS1_E11ProtoSimpleILi1ELi1ELi0ELi2ELi0ELi0EELi0ELi2ELi0EEEviiP15ncclDevWorkColl.has_recursion)
	.set .L_Z45ncclDevFunc_Reduce_RING_SIMPLE_Sum_bf16_0_0_2v.has_indirect_call, or(0, .L_ZN12_GLOBAL__N_17runRingI12hip_bfloat167FuncSumIS1_E11ProtoSimpleILi1ELi1ELi0ELi2ELi0ELi0EELi0ELi2ELi0EEEviiP15ncclDevWorkColl.has_indirect_call)
	.section	.AMDGPU.csdata,"",@progbits
; Function info:
; codeLenInByte = 592
; TotalNumSgprs: 100
; NumVgprs: 64
; ScratchSize: 240
; MemoryBound: 0
	.text
	.p2align	2                               ; -- Begin function _ZN12_GLOBAL__N_17runRingI12hip_bfloat167FuncSumIS1_E11ProtoSimpleILi1ELi1ELi0ELi2ELi0ELi0EELi0ELi2ELi1EEEviiP15ncclDevWorkColl
	.type	_ZN12_GLOBAL__N_17runRingI12hip_bfloat167FuncSumIS1_E11ProtoSimpleILi1ELi1ELi0ELi2ELi0ELi0EELi0ELi2ELi1EEEviiP15ncclDevWorkColl,@function
_ZN12_GLOBAL__N_17runRingI12hip_bfloat167FuncSumIS1_E11ProtoSimpleILi1ELi1ELi0ELi2ELi0ELi0EELi0ELi2ELi1EEEviiP15ncclDevWorkColl: ; @_ZN12_GLOBAL__N_17runRingI12hip_bfloat167FuncSumIS1_E11ProtoSimpleILi1ELi1ELi0ELi2ELi0ELi0EELi0ELi2ELi1EEEviiP15ncclDevWorkColl
; %bb.0:
	s_waitcnt vmcnt(0) expcnt(0) lgkmcnt(0)
	s_mov_b32 s4, s33
	s_mov_b32 s33, s32
	s_or_saveexec_b64 s[6:7], -1
	buffer_store_dword v63, off, s[0:3], s33 offset:352 ; 4-byte Folded Spill
	s_mov_b64 exec, s[6:7]
	v_writelane_b32 v63, s4, 10
	s_addk_i32 s32, 0x5c00
	buffer_store_dword v40, off, s[0:3], s33 offset:56 ; 4-byte Folded Spill
	buffer_store_dword v41, off, s[0:3], s33 offset:52 ; 4-byte Folded Spill
	;; [unrolled: 1-line block ×14, first 2 shown]
	buffer_store_dword v62, off, s[0:3], s33 ; 4-byte Folded Spill
	v_writelane_b32 v63, s34, 0
	v_writelane_b32 v63, s35, 1
	;; [unrolled: 1-line block ×10, first 2 shown]
	s_trap 2
	ds_read_b64 v[14:15], v0
	ds_read_b32 v6, v0
	v_mov_b32_e32 v21, v1
                                        ; implicit-def: $vgpr17_vgpr18
                                        ; implicit-def: $vgpr22_vgpr23
	s_waitcnt lgkmcnt(1)
	v_ashrrev_i32_e32 v5, 31, v15
	v_mov_b32_e32 v4, v15
	v_lshlrev_b64 v[4:5], 2, v[4:5]
	v_add_co_u32_e32 v1, vcc, v14, v4
	v_addc_co_u32_e32 v8, vcc, v15, v5, vcc
	v_add_co_u32_e32 v7, vcc, -4, v1
	flat_load_ushort v16, v[2:3] offset:8
	flat_load_dwordx2 v[4:5], v[2:3]
	v_addc_co_u32_e32 v8, vcc, -1, v8, vcc
	flat_load_dword v20, v[7:8]
                                        ; implicit-def: $vgpr7_vgpr8
                                        ; kill: killed $vgpr7_vgpr8
	s_waitcnt vmcnt(0) lgkmcnt(0)
	v_mov_b32_e32 v15, v5
	v_cmp_ne_u32_sdwa s[4:5], v6, v4 src0_sel:DWORD src1_sel:BYTE_0
	s_and_saveexec_b64 s[6:7], s[4:5]
	s_xor_b64 s[4:5], exec, s[6:7]
	s_cbranch_execz .LBB8_6
; %bb.1:
	v_not_b32_sdwa v1, v4 dst_sel:DWORD dst_unused:UNUSED_PAD src0_sel:BYTE_0
	v_cmp_ne_u32_sdwa s[6:7], v6, v4 src0_sel:DWORD src1_sel:BYTE_1
                                        ; implicit-def: $vgpr17_vgpr18
                                        ; implicit-def: $vgpr22_vgpr23
                                        ; implicit-def: $vgpr7_vgpr8
                                        ; kill: killed $vgpr7_vgpr8
	s_and_saveexec_b64 s[10:11], s[6:7]
	s_xor_b64 s[6:7], exec, s[10:11]
	s_cbranch_execz .LBB8_3
; %bb.2:
	flat_load_dwordx4 v[7:10], v[2:3] offset:72
	flat_load_dwordx2 v[4:5], v[2:3] offset:96
	v_add_u32_e32 v1, v6, v1
	v_ashrrev_i32_e32 v6, 31, v1
	s_waitcnt vmcnt(0) lgkmcnt(0)
	v_mul_lo_u32 v6, v9, v6
	v_mad_u64_u32 v[7:8], s[10:11], v9, v1, v[7:8]
	v_mul_lo_u32 v1, v10, v1
	v_mov_b32_e32 v23, v10
	v_lshrrev_b64 v[17:18], 13, v[4:5]
	v_mov_b32_e32 v22, v9
	v_add3_u32 v8, v1, v8, v6
	buffer_store_dword v7, off, s[0:3], s33 offset:224 ; 4-byte Folded Spill
	s_nop 0
	buffer_store_dword v8, off, s[0:3], s33 offset:228 ; 4-byte Folded Spill
                                        ; implicit-def: $vgpr4
                                        ; implicit-def: $vgpr1
.LBB8_3:
	s_andn2_saveexec_b64 s[6:7], s[6:7]
	s_cbranch_execz .LBB8_5
; %bb.4:
	flat_load_dwordx4 v[5:8], v[2:3] offset:72
	flat_load_dwordx4 v[22:25], v[2:3] offset:88
	v_add_u32_sdwa v1, v4, v1 dst_sel:DWORD dst_unused:UNUSED_PAD src0_sel:BYTE_1 src1_sel:DWORD
	v_ashrrev_i32_e32 v4, 31, v1
	s_waitcnt vmcnt(0) lgkmcnt(0)
	v_mul_lo_u32 v4, v7, v4
	v_mad_u64_u32 v[5:6], s[10:11], v7, v1, v[5:6]
	v_mul_lo_u32 v1, v8, v1
	v_lshrrev_b32_e32 v17, 2, v25
	v_add3_u32 v6, v1, v6, v4
	buffer_store_dword v5, off, s[0:3], s33 offset:224 ; 4-byte Folded Spill
	s_nop 0
	buffer_store_dword v6, off, s[0:3], s33 offset:228 ; 4-byte Folded Spill
.LBB8_5:
	s_or_b64 exec, exec, s[6:7]
.LBB8_6:
	s_andn2_saveexec_b64 s[4:5], s[4:5]
	s_cbranch_execz .LBB8_8
; %bb.7:
	flat_load_dwordx2 v[4:5], v[2:3] offset:96
	flat_load_dwordx2 v[22:23], v[2:3] offset:72
	s_waitcnt vmcnt(0) lgkmcnt(0)
	v_lshlrev_b64 v[17:18], 8, v[4:5]
	v_mov_b32_e32 v4, 0
	v_mov_b32_e32 v5, 0
	buffer_store_dword v4, off, s[0:3], s33 offset:224 ; 4-byte Folded Spill
	s_nop 0
	buffer_store_dword v5, off, s[0:3], s33 offset:228 ; 4-byte Folded Spill
.LBB8_8:
	s_or_b64 exec, exec, s[4:5]
	s_trap 2
	ds_read_b64 v[4:5], v0
	s_waitcnt lgkmcnt(0)
	v_cmp_ne_u32_e32 vcc, -1, v4
	v_cndmask_b32_e64 v4, 0, 1, vcc
	v_cmp_ne_u32_e32 vcc, -1, v5
	v_addc_co_u32_e64 v1, s[4:5], 0, v4, vcc
	v_lshlrev_b32_e32 v5, 1, v1
	v_cmp_le_u32_e64 s[4:5], v5, v21
	s_and_saveexec_b64 s[6:7], s[4:5]
	s_xor_b64 s[24:25], exec, s[6:7]
	s_cbranch_execz .LBB8_1496
; %bb.9:
	flat_load_dwordx4 v[10:13], v[2:3] offset:16
	flat_load_dwordx2 v[18:19], v[2:3] offset:104
	s_trap 2
	s_load_dword s4, s[8:9], 0x0
	v_mov_b32_e32 v2, 0
	v_mov_b32_e32 v27, 4
	s_waitcnt lgkmcnt(0)
	s_cmp_lt_u32 s12, s4
	s_cselect_b32 s4, 12, 18
	s_add_u32 s4, s8, s4
	s_addc_u32 s5, s9, 0
	global_load_ushort v8, v2, s[4:5]
	ds_read_b32 v2, v0
	v_cmp_ge_i32_e64 s[4:5], v0, v4
	s_waitcnt lgkmcnt(0)
	v_readfirstlane_b32 s12, v2
	s_and_saveexec_b64 s[6:7], s[4:5]
	s_cbranch_execz .LBB8_19
; %bb.10:
	v_cmp_ge_u32_e64 s[4:5], v0, v1
                                        ; implicit-def: $vgpr27
	s_and_saveexec_b64 s[10:11], s[4:5]
	s_xor_b64 s[4:5], exec, s[10:11]
	s_cbranch_execz .LBB8_16
; %bb.11:
	v_cndmask_b32_e64 v2, 0, 1, vcc
	v_sub_u32_e32 v2, v21, v2
	v_cmp_ge_u32_e32 vcc, v0, v2
	s_and_saveexec_b64 s[10:11], vcc
	s_xor_b64 s[10:11], exec, s[10:11]
; %bb.12:
                                        ; implicit-def: $vgpr1
; %bb.13:
	s_or_saveexec_b64 s[10:11], s[10:11]
	v_mov_b32_e32 v27, 16
	s_xor_b64 exec, exec, s[10:11]
; %bb.14:
	v_sub_u32_e32 v1, v21, v1
	v_cmp_lt_i32_e32 vcc, v0, v1
	v_cndmask_b32_e64 v27, 32, 0, vcc
; %bb.15:
	s_or_b64 exec, exec, s[10:11]
.LBB8_16:
	s_andn2_saveexec_b64 s[4:5], s[4:5]
; %bb.17:
	v_mov_b32_e32 v27, 8
; %bb.18:
	s_or_b64 exec, exec, s[4:5]
.LBB8_19:
	s_or_b64 exec, exec, s[6:7]
	v_and_b32_e32 v1, 36, v27
	v_cmp_ne_u32_e32 vcc, 0, v1
	v_mov_b32_e32 v1, -1
	s_and_saveexec_b64 s[4:5], vcc
	s_cbranch_execz .LBB8_21
; %bb.20:
	s_trap 2
	ds_read_b32 v1, v0
.LBB8_21:
	s_or_b64 exec, exec, s[4:5]
	v_and_b32_e32 v2, 24, v27
	v_cmp_ne_u32_e64 s[4:5], 0, v2
	s_and_saveexec_b64 s[6:7], s[4:5]
	s_cbranch_execz .LBB8_23
; %bb.22:
	s_trap 2
	s_waitcnt lgkmcnt(0)
	ds_read_b32 v1, v0
.LBB8_23:
	s_or_b64 exec, exec, s[6:7]
	v_lshrrev_b64 v[2:3], 31, v[15:16]
	v_mov_b32_e32 v24, 0
	v_mov_b32_e32 v54, 0
	v_and_b32_e32 v5, 3, v2
                                        ; implicit-def: $vgpr2_vgpr3
	v_mov_b32_e32 v25, 0
	v_mov_b32_e32 v55, 0
                                        ; kill: killed $vgpr2_vgpr3
                                        ; implicit-def: $vgpr2
                                        ; kill: killed $vgpr2
                                        ; implicit-def: $vgpr44_vgpr45
                                        ; implicit-def: $vgpr2_vgpr3
                                        ; kill: killed $vgpr2_vgpr3
                                        ; implicit-def: $vgpr40_vgpr41
	s_and_saveexec_b64 s[4:5], vcc
	s_cbranch_execz .LBB8_33
; %bb.24:
	s_trap 2
	ds_read_b64 v[6:7], v0
	s_waitcnt lgkmcnt(0)
	v_ashrrev_i32_e32 v2, 31, v1
	v_lshlrev_b64 v[2:3], 3, v[1:2]
	s_movk_i32 s6, 0xa8
	v_add_co_u32_e32 v2, vcc, v6, v2
	v_addc_co_u32_e32 v3, vcc, v7, v3, vcc
	flat_load_dwordx2 v[2:3], v[2:3]
	v_and_b32_e32 v6, 0xffff, v5
	s_waitcnt vmcnt(0) lgkmcnt(0)
	v_mad_u64_u32 v[2:3], s[6:7], v6, s6, v[2:3]
	flat_load_dword v6, v[2:3] offset:640
	s_waitcnt vmcnt(0) lgkmcnt(0)
	v_cmp_eq_u32_e32 vcc, 1, v6
                                        ; implicit-def: $vgpr6_vgpr7
                                        ; kill: killed $vgpr6_vgpr7
	s_and_saveexec_b64 s[6:7], vcc
	s_cbranch_execz .LBB8_26
; %bb.25:
	flat_load_dwordx2 v[24:25], v[2:3] offset:648
	v_or_b32_e32 v27, 0x2000, v27
	s_waitcnt vmcnt(0) lgkmcnt(0)
	flat_load_dwordx2 v[6:7], v[24:25]
	s_trap 2
	s_waitcnt vmcnt(0) lgkmcnt(0)
	ds_write_b64 v0, v[6:7]
	flat_load_dwordx2 v[6:7], v[24:25] offset:8
	s_waitcnt vmcnt(0) lgkmcnt(0)
	ds_write_b64 v0, v[6:7]
	buffer_store_dword v24, off, s[0:3], s33 offset:336 ; 4-byte Folded Spill
	s_nop 0
	buffer_store_dword v25, off, s[0:3], s33 offset:340 ; 4-byte Folded Spill
	flat_load_dwordx2 v[6:7], v[24:25] offset:16
	s_waitcnt vmcnt(0) lgkmcnt(0)
	ds_write_b64 v0, v[6:7]
.LBB8_26:
	s_or_b64 exec, exec, s[6:7]
	flat_load_dwordx2 v[56:57], v[2:3] offset:608
	v_and_b32_e32 v6, 32, v27
	v_cmp_ne_u32_e32 vcc, 0, v6
                                        ; implicit-def: $vgpr40_vgpr41
	s_and_saveexec_b64 s[6:7], vcc
	s_cbranch_execz .LBB8_28
; %bb.27:
	flat_load_dwordx2 v[40:41], v[2:3] offset:560
	s_waitcnt vmcnt(0) lgkmcnt(0)
	flat_store_dwordx2 v[40:41], v[56:57]
.LBB8_28:
	s_or_b64 exec, exec, s[6:7]
	v_add_co_u32_e32 v24, vcc, 0x1f8, v2
	v_addc_co_u32_e32 v25, vcc, 0, v3, vcc
	v_and_b32_e32 v6, 4, v27
	v_mov_b32_e32 v54, 0
	v_mov_b32_e32 v55, 0
	v_cmp_ne_u32_e32 vcc, 0, v6
                                        ; implicit-def: $vgpr6
                                        ; kill: killed $vgpr6
                                        ; implicit-def: $vgpr44_vgpr45
                                        ; implicit-def: $vgpr6_vgpr7
                                        ; kill: killed $vgpr6_vgpr7
	s_and_saveexec_b64 s[6:7], vcc
	s_cbranch_execz .LBB8_32
; %bb.29:
	v_and_b32_e32 v6, 0x800, v27
	v_cmp_eq_u32_e32 vcc, 0, v6
	s_and_saveexec_b64 s[10:11], vcc
	s_cbranch_execz .LBB8_31
; %bb.30:
	s_trap 2
	ds_write_b64 v0, v[24:25]
.LBB8_31:
	s_or_b64 exec, exec, s[10:11]
	flat_load_dwordx2 v[40:41], v[2:3] offset:552
	s_waitcnt vmcnt(0) lgkmcnt(0)
	flat_load_dwordx2 v[44:45], v[40:41] glc
	flat_load_dword v6, v[2:3] offset:576
	flat_load_dwordx2 v[54:55], v[2:3] offset:600
	s_nop 0
	flat_load_dwordx2 v[2:3], v[2:3] offset:520
	s_waitcnt vmcnt(0) lgkmcnt(0)
	buffer_store_dword v2, off, s[0:3], s33 offset:200 ; 4-byte Folded Spill
	s_nop 0
	buffer_store_dword v3, off, s[0:3], s33 offset:204 ; 4-byte Folded Spill
	v_cmp_eq_u64_e32 vcc, 0, v[54:55]
	v_or_b32_e32 v2, 0x100, v27
	v_ashrrev_i32_e32 v3, 1, v6
	v_cndmask_b32_e32 v27, v2, v27, vcc
	buffer_store_dword v3, off, s[0:3], s33 offset:232 ; 4-byte Folded Spill
.LBB8_32:
	s_or_b64 exec, exec, s[6:7]
.LBB8_33:
	s_or_b64 exec, exec, s[4:5]
	v_and_b32_e32 v2, 24, v27
	v_cmp_ne_u32_e32 vcc, 0, v2
                                        ; implicit-def: $vgpr2_vgpr3
                                        ; kill: killed $vgpr2_vgpr3
	s_and_saveexec_b64 s[4:5], vcc
	s_cbranch_execz .LBB8_41
; %bb.34:
	s_trap 2
	ds_read_b64 v[6:7], v0
	s_waitcnt lgkmcnt(0)
	v_ashrrev_i32_e32 v2, 31, v1
	v_lshlrev_b64 v[1:2], 3, v[1:2]
	v_and_b32_e32 v3, 0xffff, v5
	s_movk_i32 s6, 0xa8
	v_add_co_u32_e32 v1, vcc, v6, v1
	v_addc_co_u32_e32 v2, vcc, v7, v2, vcc
	flat_load_dwordx2 v[1:2], v[1:2]
	s_waitcnt vmcnt(0) lgkmcnt(0)
	v_mad_u64_u32 v[24:25], s[6:7], v3, s6, v[1:2]
	v_or_b32_e32 v1, 0x100, v27
	flat_load_dwordx4 v[54:57], v[24:25] offset:96
	s_waitcnt vmcnt(0) lgkmcnt(0)
	v_cmp_eq_u64_e32 vcc, 0, v[54:55]
	v_cndmask_b32_e32 v27, v1, v27, vcc
	v_and_b32_e32 v1, 16, v27
	v_cmp_ne_u32_e32 vcc, 0, v1
                                        ; implicit-def: $vgpr1_vgpr2
                                        ; kill: killed $vgpr1_vgpr2
	s_and_saveexec_b64 s[6:7], vcc
	s_cbranch_execz .LBB8_36
; %bb.35:
	flat_load_dwordx2 v[40:41], v[24:25] offset:48
	flat_load_dwordx2 v[1:2], v[24:25] offset:120
	s_waitcnt vmcnt(0) lgkmcnt(0)
	buffer_store_dword v1, off, s[0:3], s33 offset:216 ; 4-byte Folded Spill
	s_nop 0
	buffer_store_dword v2, off, s[0:3], s33 offset:220 ; 4-byte Folded Spill
	flat_load_dwordx2 v[1:2], v[24:25] offset:16
	s_waitcnt vmcnt(0) lgkmcnt(0)
	buffer_store_dword v1, off, s[0:3], s33 offset:200 ; 4-byte Folded Spill
	s_nop 0
	buffer_store_dword v2, off, s[0:3], s33 offset:204 ; 4-byte Folded Spill
.LBB8_36:
	s_or_b64 exec, exec, s[6:7]
	v_and_b32_e32 v1, 8, v27
	v_cmp_ne_u32_e32 vcc, 0, v1
	s_and_saveexec_b64 s[6:7], vcc
	s_cbranch_execz .LBB8_40
; %bb.37:
	v_and_b32_e32 v1, 0x800, v27
	v_cmp_eq_u32_e32 vcc, 0, v1
	s_and_saveexec_b64 s[10:11], vcc
	s_cbranch_execz .LBB8_39
; %bb.38:
	s_trap 2
	ds_write_b64 v0, v[24:25]
.LBB8_39:
	s_or_b64 exec, exec, s[10:11]
	flat_load_dwordx2 v[40:41], v[24:25] offset:56
	s_waitcnt vmcnt(0) lgkmcnt(0)
	flat_load_dwordx2 v[44:45], v[40:41] glc
	flat_load_dword v1, v[24:25] offset:72
	flat_load_dwordx2 v[2:3], v[24:25] offset:16
	s_waitcnt vmcnt(0) lgkmcnt(0)
	buffer_store_dword v2, off, s[0:3], s33 offset:200 ; 4-byte Folded Spill
	s_nop 0
	buffer_store_dword v3, off, s[0:3], s33 offset:204 ; 4-byte Folded Spill
	v_ashrrev_i32_e32 v1, 1, v1
	buffer_store_dword v1, off, s[0:3], s33 offset:232 ; 4-byte Folded Spill
.LBB8_40:
	s_or_b64 exec, exec, s[6:7]
.LBB8_41:
	s_or_b64 exec, exec, s[4:5]
	v_cmp_eq_u32_e64 s[4:5], 0, v0
	s_and_saveexec_b64 s[6:7], s[4:5]
	s_cbranch_execz .LBB8_43
; %bb.42:
	s_waitcnt vmcnt(0) lgkmcnt(0)
	v_mov_b32_e32 v1, v12
	v_mov_b32_e32 v2, v13
	;; [unrolled: 1-line block ×4, first 2 shown]
	ds_write2_b64 v0, v[1:2], v[5:6] offset1:1
	v_mov_b32_e32 v1, 0
	v_mov_b32_e32 v2, v1
	s_trap 2
	ds_write_b64 v0, v[1:2]
	ds_write_b64 v0, v[18:19]
.LBB8_43:
	s_or_b64 exec, exec, s[6:7]
	s_ashr_i32 s6, s12, 31
	s_lshr_b32 s6, s6, 29
	s_add_i32 s12, s12, s6
	s_waitcnt lgkmcnt(0)
	v_bfe_u32 v1, v15, 1, 30
	v_and_b32_e32 v38, 0x1fffff00, v17
	v_mov_b32_e32 v39, 0
	s_ashr_i32 s30, s12, 4
	v_cmp_ne_u32_e32 vcc, v20, v1
                                        ; implicit-def: $vgpr2_vgpr3
                                        ; kill: killed $vgpr2_vgpr3
	s_and_saveexec_b64 s[6:7], vcc
	s_xor_b64 s[26:27], exec, s[6:7]
	s_cbranch_execz .LBB8_1259
; %bb.44:
	v_cmp_ne_u32_e32 vcc, v14, v1
                                        ; implicit-def: $vgpr1_vgpr2
                                        ; kill: killed $vgpr1_vgpr2
	s_and_saveexec_b64 s[6:7], vcc
	s_xor_b64 s[28:29], exec, s[6:7]
	s_cbranch_execz .LBB8_657
; %bb.45:
	v_mov_b32_e32 v1, 0
	v_cmp_ne_u64_e32 vcc, 0, v[22:23]
	v_mov_b32_e32 v2, 0
	buffer_store_dword v1, off, s[0:3], s33 offset:128 ; 4-byte Folded Spill
	s_nop 0
	buffer_store_dword v2, off, s[0:3], s33 offset:132 ; 4-byte Folded Spill
	s_and_saveexec_b64 s[40:41], vcc
	s_cbranch_execz .LBB8_656
; %bb.46:
	buffer_store_dword v24, off, s[0:3], s33 offset:288 ; 4-byte Folded Spill
	s_nop 0
	buffer_store_dword v25, off, s[0:3], s33 offset:292 ; 4-byte Folded Spill
	buffer_store_dword v54, off, s[0:3], s33 offset:136 ; 4-byte Folded Spill
	s_nop 0
	buffer_store_dword v55, off, s[0:3], s33 offset:140 ; 4-byte Folded Spill
	s_waitcnt vmcnt(0)
	buffer_store_dword v56, off, s[0:3], s33 offset:144 ; 4-byte Folded Spill
	buffer_store_dword v57, off, s[0:3], s33 offset:148 ; 4-byte Folded Spill
	s_trap 2
	buffer_load_dword v1, off, s[0:3], s33 offset:232 ; 4-byte Folded Reload
	s_lshr_b32 s6, s30, 27
	s_add_i32 s6, s30, s6
	s_ashr_i32 s31, s6, 5
	v_cmp_ge_i32_e64 s[6:7], v0, v21
	v_lshrrev_b32_e32 v3, 6, v21
	s_movk_i32 s18, 0x800
	v_lshlrev_b32_e32 v35, 10, v3
	buffer_store_dword v8, off, s[0:3], s33 offset:284 ; 4-byte Folded Spill
	buffer_store_dword v31, off, s[0:3], s33 offset:280 ; 4-byte Folded Spill
	;; [unrolled: 1-line block ×3, first 2 shown]
	s_movk_i32 s36, 0x400
	v_lshlrev_b32_e32 v48, 7, v3
	v_add_u32_e32 v49, 0xffffff80, v48
	s_movk_i32 s20, 0x80
	v_cmp_eq_u32_e32 vcc, 64, v21
	v_mov_b32_e32 v57, v3
	v_ashrrev_i32_e32 v50, 31, v49
	v_add_co_u32_e64 v51, s[20:21], s20, v49
	v_cmp_ne_u32_e64 s[10:11], 64, v21
	v_cmp_ne_u32_sdwa s[42:43], v21, v8 src0_sel:DWORD src1_sel:WORD_0
	v_mov_b32_e32 v60, 0
	s_mov_b64 s[44:45], 0
	v_addc_co_u32_e64 v52, s[20:21], 0, v50, s[20:21]
	s_movk_i32 s37, 0x108
	v_mov_b32_e32 v26, 1
	s_xor_b64 s[46:47], vcc, -1
	s_mov_b32 s38, 0x7f800000
	s_movk_i32 s39, 0x7fff
	s_mov_b32 s48, 0xffff0000
	v_mov_b32_e32 v53, 0xc8
	v_mov_b32_e32 v42, 0x90
	s_waitcnt vmcnt(3)
	v_ashrrev_i32_e32 v28, 31, v1
	v_and_b32_e32 v1, 63, v31
	v_cmp_eq_u32_e64 s[12:13], 0, v1
	v_ashrrev_i32_e32 v1, 31, v0
	v_lshrrev_b32_e32 v1, 26, v1
	v_add_u32_e32 v1, v0, v1
	v_and_b32_e32 v2, 0xffffffc0, v1
	v_sub_u32_e32 v0, v0, v2
	v_cmp_le_i32_e64 s[14:15], v0, v4
	v_cmp_lt_i32_e64 s[16:17], v0, v4
	v_ashrrev_i32_e32 v32, 6, v1
	buffer_store_dword v0, off, s[0:3], s33 offset:272 ; 4-byte Folded Spill
	v_lshlrev_b32_e32 v0, 4, v0
	v_lshl_add_u32 v0, v32, 11, v0
	buffer_store_dword v0, off, s[0:3], s33 offset:296 ; 4-byte Folded Spill
	v_ashrrev_i32_e32 v0, 31, v0
	buffer_store_dword v0, off, s[0:3], s33 offset:300 ; 4-byte Folded Spill
	v_mov_b32_e32 v0, 0xfffff800
	v_lshl_add_u32 v0, v3, 11, v0
	v_ashrrev_i32_e32 v1, 31, v0
	buffer_store_dword v0, off, s[0:3], s33 offset:188 ; 4-byte Folded Spill
	v_add_co_u32_e64 v0, s[18:19], s18, v0
	v_addc_co_u32_e64 v30, s[18:19], 0, v1, s[18:19]
	buffer_store_dword v0, off, s[0:3], s33 offset:152 ; 4-byte Folded Spill
	buffer_store_dword v1, off, s[0:3], s33 offset:208 ; 4-byte Folded Spill
	s_lshr_b32 s18, s33, 6
	v_add_u32_e32 v0, 0xfffffc00, v35
	s_add_i32 s34, s18, 0x70
	s_lshr_b32 s18, s33, 6
	v_ashrrev_i32_e32 v1, 31, v0
	s_add_i32 s35, s18, 0x50
	buffer_store_dword v0, off, s[0:3], s33 offset:172 ; 4-byte Folded Spill
	v_add_co_u32_e64 v62, s[18:19], s36, v0
	buffer_store_dword v1, off, s[0:3], s33 offset:180 ; 4-byte Folded Spill
	v_addc_co_u32_e64 v31, s[18:19], 0, v1, s[18:19]
	buffer_load_dword v0, off, s[0:3], s33 offset:216 ; 4-byte Folded Reload
	buffer_load_dword v1, off, s[0:3], s33 offset:220 ; 4-byte Folded Reload
	v_mov_b32_e32 v2, 0
	v_mov_b32_e32 v3, 0
	s_waitcnt vmcnt(0)
	v_cmp_eq_u64_e64 s[18:19], 0, v[0:1]
	v_mov_b32_e32 v0, 0
	v_mov_b32_e32 v1, 0
	buffer_store_dword v0, off, s[0:3], s33 offset:128 ; 4-byte Folded Spill
	s_nop 0
	buffer_store_dword v1, off, s[0:3], s33 offset:132 ; 4-byte Folded Spill
	buffer_store_dword v38, off, s[0:3], s33 offset:192 ; 4-byte Folded Spill
	s_nop 0
	buffer_store_dword v39, off, s[0:3], s33 offset:196 ; 4-byte Folded Spill
	buffer_store_dword v28, off, s[0:3], s33 offset:304 ; 4-byte Folded Spill
	;; [unrolled: 1-line block ×10, first 2 shown]
	s_nop 0
	buffer_store_dword v23, off, s[0:3], s33 offset:160 ; 4-byte Folded Spill
	buffer_store_dword v24, off, s[0:3], s33 offset:164 ; 4-byte Folded Spill
	;; [unrolled: 1-line block ×3, first 2 shown]
	s_branch .LBB8_49
.LBB8_47:                               ;   in Loop: Header=BB8_49 Depth=1
	s_or_b64 exec, exec, s[20:21]
	s_waitcnt vmcnt(0)
	buffer_store_dword v15, off, s[0:3], s33 offset:136 ; 4-byte Folded Spill
	s_nop 0
	buffer_store_dword v16, off, s[0:3], s33 offset:140 ; 4-byte Folded Spill
	buffer_store_dword v17, off, s[0:3], s33 offset:144 ; 4-byte Folded Spill
	buffer_store_dword v18, off, s[0:3], s33 offset:148 ; 4-byte Folded Spill
.LBB8_48:                               ;   in Loop: Header=BB8_49 Depth=1
	s_or_b64 exec, exec, s[22:23]
	buffer_load_dword v22, off, s[0:3], s33 offset:156 ; 4-byte Folded Reload
	buffer_load_dword v23, off, s[0:3], s33 offset:160 ; 4-byte Folded Reload
	;; [unrolled: 1-line block ×4, first 2 shown]
	v_add_co_u32_e32 v2, vcc, v2, v38
	v_addc_co_u32_e32 v3, vcc, 0, v3, vcc
	s_waitcnt vmcnt(0)
	v_cmp_ge_u64_e32 vcc, v[2:3], v[22:23]
	s_or_b64 s[44:45], vcc, s[44:45]
	s_andn2_b64 exec, exec, s[44:45]
	s_cbranch_execz .LBB8_655
.LBB8_49:                               ; =>This Loop Header: Depth=1
                                        ;     Child Loop BB8_58 Depth 2
                                        ;     Child Loop BB8_86 Depth 2
	;; [unrolled: 1-line block ×5, first 2 shown]
                                        ;       Child Loop BB8_335 Depth 3
                                        ;       Child Loop BB8_372 Depth 3
                                        ;     Child Loop BB8_449 Depth 2
                                        ;     Child Loop BB8_556 Depth 2
                                        ;       Child Loop BB8_557 Depth 3
                                        ;       Child Loop BB8_566 Depth 3
                                        ;     Child Loop BB8_585 Depth 2
                                        ;     Child Loop BB8_610 Depth 2
	;; [unrolled: 1-line block ×3, first 2 shown]
	v_sub_co_u32_e32 v0, vcc, v22, v2
	v_subb_co_u32_e32 v1, vcc, v23, v3, vcc
	v_cmp_lt_u64_e32 vcc, v[38:39], v[0:1]
	v_cndmask_b32_e64 v55, v1, 0, vcc
	v_cndmask_b32_e32 v54, v0, v38, vcc
	v_cmp_eq_u64_e32 vcc, 0, v[54:55]
	v_add_u32_e32 v0, 15, v54
	v_and_b32_e32 v0, 0x3ffffff0, v0
	s_or_b64 s[56:57], s[6:7], vcc
	v_max_i32_e32 v24, s31, v0
	s_xor_b64 s[20:21], s[56:57], -1
	v_mov_b32_e32 v0, 0
	s_and_saveexec_b64 s[58:59], s[20:21]
	s_cbranch_execz .LBB8_603
; %bb.50:                               ;   in Loop: Header=BB8_49 Depth=1
	s_and_saveexec_b64 s[20:21], s[4:5]
	s_cbranch_execz .LBB8_52
; %bb.51:                               ;   in Loop: Header=BB8_49 Depth=1
	s_trap 2
	ds_read_b64 v[0:1], v0
	buffer_load_dword v4, off, s[0:3], s33 offset:224 ; 4-byte Folded Reload
	buffer_load_dword v5, off, s[0:3], s33 offset:228 ; 4-byte Folded Reload
	v_mov_b32_e32 v61, v60
	s_waitcnt vmcnt(0)
	v_lshlrev_b64 v[4:5], 1, v[4:5]
	s_waitcnt lgkmcnt(0)
	v_add_co_u32_e32 v4, vcc, v0, v4
	v_addc_co_u32_e32 v5, vcc, v1, v5, vcc
	v_lshlrev_b64 v[0:1], 1, v[2:3]
	v_add_co_u32_e32 v0, vcc, v4, v0
	v_addc_co_u32_e32 v1, vcc, v5, v1, vcc
	ds_write_b64 v0, v[0:1]
	ds_write_b64 v0, v[60:61]
.LBB8_52:                               ;   in Loop: Header=BB8_49 Depth=1
	s_or_b64 exec, exec, s[20:21]
	v_and_b32_e32 v0, 12, v27
	v_min_u32_e32 v24, v24, v54
	v_cmp_ne_u32_e32 vcc, 0, v0
	s_and_saveexec_b64 s[22:23], vcc
	s_cbranch_execz .LBB8_78
; %bb.53:                               ;   in Loop: Header=BB8_49 Depth=1
	buffer_load_dword v6, off, s[0:3], s33 offset:136 ; 4-byte Folded Reload
	buffer_load_dword v7, off, s[0:3], s33 offset:140 ; 4-byte Folded Reload
	;; [unrolled: 1-line block ×4, first 2 shown]
	v_and_b32_e32 v12, 8, v27
	v_add_co_u32_e32 v4, vcc, v44, v12
	v_addc_co_u32_e32 v5, vcc, 0, v45, vcc
	s_waitcnt vmcnt(0)
	v_add_co_u32_e32 v0, vcc, 1, v8
	s_waitcnt vmcnt(0)
	v_addc_co_u32_e32 v1, vcc, 0, v9, vcc
	v_cmp_lt_u64_e32 vcc, v[4:5], v[0:1]
	s_and_saveexec_b64 s[60:61], vcc
	s_cbranch_execz .LBB8_65
; %bb.54:                               ;   in Loop: Header=BB8_49 Depth=1
	v_and_b32_e32 v4, 64, v27
	s_mov_b32 s49, 0
	v_cmp_eq_u32_e32 vcc, 0, v4
	s_mov_b64 s[62:63], 0
                                        ; implicit-def: $sgpr72_sgpr73
                                        ; implicit-def: $sgpr74_sgpr75
                                        ; implicit-def: $sgpr76_sgpr77
	s_branch .LBB8_58
.LBB8_55:                               ;   in Loop: Header=BB8_58 Depth=2
	s_waitcnt vmcnt(0) lgkmcnt(0)
	v_add_co_u32_e64 v5, s[20:21], v44, v12
	v_addc_co_u32_e64 v6, s[20:21], 0, v45, s[20:21]
	v_cmp_ge_u64_e64 s[20:21], v[5:6], v[0:1]
	s_or_b64 s[90:91], s[90:91], exec
	s_orn2_b64 s[88:89], s[20:21], exec
.LBB8_56:                               ;   in Loop: Header=BB8_58 Depth=2
	s_or_b64 exec, exec, s[94:95]
	s_andn2_b64 s[20:21], s[76:77], exec
	s_and_b64 s[76:77], s[90:91], exec
	s_or_b64 s[76:77], s[20:21], s[76:77]
	s_andn2_b64 s[20:21], s[74:75], exec
	s_and_b64 s[74:75], s[88:89], exec
	s_or_b64 s[74:75], s[20:21], s[74:75]
.LBB8_57:                               ;   in Loop: Header=BB8_58 Depth=2
	s_or_b64 exec, exec, s[78:79]
	s_and_b64 s[20:21], exec, s[74:75]
	s_or_b64 s[62:63], s[20:21], s[62:63]
	s_andn2_b64 s[20:21], s[72:73], exec
	s_and_b64 s[72:73], s[76:77], exec
	s_or_b64 s[72:73], s[20:21], s[72:73]
	s_andn2_b64 exec, exec, s[62:63]
	s_cbranch_execz .LBB8_62
.LBB8_58:                               ;   Parent Loop BB8_49 Depth=1
                                        ; =>  This Inner Loop Header: Depth=2
	s_sleep 1
	s_waitcnt vmcnt(0) lgkmcnt(0)
	flat_load_dwordx2 v[44:45], v[40:41] glc
	s_or_b64 s[76:77], s[76:77], exec
	s_or_b64 s[74:75], s[74:75], exec
                                        ; implicit-def: $vgpr4
	s_and_saveexec_b64 s[78:79], vcc
	s_cbranch_execz .LBB8_57
; %bb.59:                               ;   in Loop: Header=BB8_58 Depth=2
	s_cmpk_lt_i32 s49, 0x270f
	s_cselect_b64 s[92:93], -1, 0
	s_cmpk_gt_i32 s49, 0x270e
	s_mov_b64 s[88:89], -1
	s_cbranch_scc0 .LBB8_61
; %bb.60:                               ;   in Loop: Header=BB8_58 Depth=2
	s_trap 2
	ds_read_b64 v[4:5], v0
	s_andn2_b64 s[92:93], s[92:93], exec
	s_mov_b32 s49, 0
	s_mov_b64 s[90:91], 0
	s_waitcnt vmcnt(0) lgkmcnt(0)
	flat_load_dword v4, v[4:5] glc
	s_waitcnt vmcnt(0) lgkmcnt(0)
	buffer_wbinvl1_vol
	v_cmp_eq_u32_e64 s[20:21], 0, v4
	s_and_b64 s[20:21], s[20:21], exec
	s_or_b64 s[92:93], s[92:93], s[20:21]
	s_and_saveexec_b64 s[94:95], s[92:93]
	s_cbranch_execz .LBB8_56
	s_branch .LBB8_55
.LBB8_61:                               ;   in Loop: Header=BB8_58 Depth=2
	s_add_i32 s49, s49, 1
	s_mov_b64 s[90:91], -1
                                        ; implicit-def: $vgpr4
	s_and_saveexec_b64 s[94:95], s[92:93]
	s_cbranch_execz .LBB8_56
	s_branch .LBB8_55
.LBB8_62:                               ;   in Loop: Header=BB8_49 Depth=1
	s_or_b64 exec, exec, s[62:63]
	s_xor_b64 s[20:21], s[72:73], -1
	s_and_saveexec_b64 s[62:63], s[20:21]
	s_xor_b64 s[20:21], exec, s[62:63]
	s_cbranch_execz .LBB8_64
; %bb.63:                               ;   in Loop: Header=BB8_49 Depth=1
	v_or_b32_e32 v27, 64, v27
	s_waitcnt lgkmcnt(0)
	ds_write_b32 v0, v4
	s_trap 2
.LBB8_64:                               ;   in Loop: Header=BB8_49 Depth=1
	s_or_b64 exec, exec, s[20:21]
.LBB8_65:                               ;   in Loop: Header=BB8_49 Depth=1
	s_or_b64 exec, exec, s[60:61]
	v_and_b32_e32 v4, 0x108, v27
	v_cmp_ne_u32_e32 vcc, s37, v4
	;;#ASMSTART
	s_wakeup
	;;#ASMEND
                                        ; implicit-def: $vgpr4_vgpr5
	s_and_saveexec_b64 s[20:21], vcc
	s_xor_b64 s[20:21], exec, s[20:21]
	s_cbranch_execz .LBB8_67
; %bb.66:                               ;   in Loop: Header=BB8_49 Depth=1
	buffer_load_dword v4, off, s[0:3], s33 offset:136 ; 4-byte Folded Reload
	buffer_load_dword v5, off, s[0:3], s33 offset:140 ; 4-byte Folded Reload
	;; [unrolled: 1-line block ×4, first 2 shown]
	s_waitcnt vmcnt(0)
	v_mov_b32_e32 v5, v60
	v_and_b32_e32 v4, 7, v6
.LBB8_67:                               ;   in Loop: Header=BB8_49 Depth=1
	s_andn2_saveexec_b64 s[20:21], s[20:21]
	s_cbranch_execz .LBB8_69
; %bb.68:                               ;   in Loop: Header=BB8_49 Depth=1
	buffer_load_dword v4, off, s[0:3], s33 offset:136 ; 4-byte Folded Reload
	buffer_load_dword v5, off, s[0:3], s33 offset:140 ; 4-byte Folded Reload
	buffer_load_dword v6, off, s[0:3], s33 offset:144 ; 4-byte Folded Reload
	buffer_load_dword v7, off, s[0:3], s33 offset:148 ; 4-byte Folded Reload
	v_lshlrev_b32_e32 v8, 1, v24
	v_mov_b32_e32 v9, v60
	s_waitcnt vmcnt(0)
	v_mov_b32_e32 v7, v6
	v_mov_b32_e32 v6, v5
	;; [unrolled: 1-line block ×3, first 2 shown]
	v_and_b32_e32 v4, 7, v7
	v_mad_u64_u32 v[6:7], s[60:61], v4, 24, v[5:6]
	v_mov_b32_e32 v5, v60
	flat_store_dwordx2 v[6:7], v[8:9] offset:8
.LBB8_69:                               ;   in Loop: Header=BB8_49 Depth=1
	s_or_b64 exec, exec, s[20:21]
	v_and_b32_e32 v6, 0x100, v27
	v_cmp_ne_u32_e32 vcc, 0, v6
	s_mov_b64 s[20:21], -1
                                        ; implicit-def: $vgpr8_vgpr9
	s_and_saveexec_b64 s[60:61], vcc
	s_cbranch_execz .LBB8_73
; %bb.70:                               ;   in Loop: Header=BB8_49 Depth=1
	buffer_load_dword v6, off, s[0:3], s33 offset:136 ; 4-byte Folded Reload
	buffer_load_dword v7, off, s[0:3], s33 offset:140 ; 4-byte Folded Reload
	;; [unrolled: 1-line block ×4, first 2 shown]
                                        ; implicit-def: $vgpr8_vgpr9
	s_waitcnt vmcnt(0)
	v_mad_u64_u32 v[10:11], s[20:21], v4, 24, v[6:7]
	v_mov_b32_e32 v6, v11
	v_mad_u64_u32 v[6:7], s[20:21], v5, 24, v[6:7]
	v_mov_b32_e32 v11, v6
	flat_load_dword v6, v[10:11]
	s_waitcnt vmcnt(0) lgkmcnt(0)
	v_cmp_ne_u32_e32 vcc, 1, v6
	v_cmp_eq_u32_e64 s[20:21], 1, v6
	s_and_saveexec_b64 s[62:63], s[20:21]
	s_cbranch_execz .LBB8_72
; %bb.71:                               ;   in Loop: Header=BB8_49 Depth=1
	flat_load_dword v6, v[10:11] offset:4 glc
	s_waitcnt vmcnt(0) lgkmcnt(0)
	v_ashrrev_i32_e32 v7, 31, v6
	v_lshrrev_b64 v[8:9], 1, v[6:7]
.LBB8_72:                               ;   in Loop: Header=BB8_49 Depth=1
	s_or_b64 exec, exec, s[62:63]
	s_orn2_b64 s[20:21], vcc, exec
.LBB8_73:                               ;   in Loop: Header=BB8_49 Depth=1
	s_or_b64 exec, exec, s[60:61]
	s_and_saveexec_b64 s[60:61], s[20:21]
	s_cbranch_execz .LBB8_75
; %bb.74:                               ;   in Loop: Header=BB8_49 Depth=1
	buffer_load_dword v7, off, s[0:3], s33 offset:232 ; 4-byte Folded Reload
	v_mul_lo_u32 v6, v4, v28
	s_waitcnt vmcnt(0)
	v_mul_lo_u32 v5, v5, v7
	v_mad_u64_u32 v[8:9], s[20:21], v4, v7, 0
	v_add3_u32 v9, v9, v6, v5
.LBB8_75:                               ;   in Loop: Header=BB8_49 Depth=1
	s_or_b64 exec, exec, s[60:61]
	v_lshlrev_b64 v[4:5], 1, v[8:9]
	buffer_load_dword v7, off, s[0:3], s33 offset:200 ; 4-byte Folded Reload
	buffer_load_dword v8, off, s[0:3], s33 offset:204 ; 4-byte Folded Reload
	v_cmp_eq_u32_e32 vcc, 0, v12
	v_cndmask_b32_e32 v6, v53, v42, vcc
	v_add_u32_e32 v6, v0, v6
	s_waitcnt vmcnt(0)
	v_add_co_u32_e32 v4, vcc, v7, v4
	v_addc_co_u32_e32 v5, vcc, v8, v5, vcc
	ds_write_b64 v6, v[4:5] offset:584
	v_and_b32_e32 v4, 0x2000, v27
	v_cmp_ne_u32_e32 vcc, 0, v4
	s_and_saveexec_b64 s[20:21], vcc
	s_cbranch_execz .LBB8_77
; %bb.76:                               ;   in Loop: Header=BB8_49 Depth=1
	ds_read_b64 v[4:5], v0 offset:872
	s_waitcnt lgkmcnt(0)
	v_add_co_u32_e32 v4, vcc, 1, v4
	v_addc_co_u32_e32 v5, vcc, 0, v5, vcc
	ds_write_b64 v0, v[4:5] offset:872
.LBB8_77:                               ;   in Loop: Header=BB8_49 Depth=1
	s_or_b64 exec, exec, s[20:21]
	buffer_load_dword v4, off, s[0:3], s33 offset:136 ; 4-byte Folded Reload
	buffer_load_dword v5, off, s[0:3], s33 offset:140 ; 4-byte Folded Reload
	;; [unrolled: 1-line block ×4, first 2 shown]
	s_waitcnt vmcnt(0)
	v_mov_b32_e32 v7, v1
	v_mov_b32_e32 v6, v0
	buffer_store_dword v4, off, s[0:3], s33 offset:136 ; 4-byte Folded Spill
	s_nop 0
	buffer_store_dword v5, off, s[0:3], s33 offset:140 ; 4-byte Folded Spill
	buffer_store_dword v6, off, s[0:3], s33 offset:144 ; 4-byte Folded Spill
	;; [unrolled: 1-line block ×3, first 2 shown]
.LBB8_78:                               ;   in Loop: Header=BB8_49 Depth=1
	s_or_b64 exec, exec, s[22:23]
	s_and_saveexec_b64 s[20:21], s[10:11]
	s_cbranch_execz .LBB8_97
; %bb.79:                               ;   in Loop: Header=BB8_49 Depth=1
	s_and_saveexec_b64 s[22:23], s[42:43]
	s_xor_b64 s[22:23], exec, s[22:23]
	s_cbranch_execz .LBB8_94
; %bb.80:                               ;   in Loop: Header=BB8_49 Depth=1
	s_and_saveexec_b64 s[60:61], s[12:13]
	s_cbranch_execz .LBB8_93
; %bb.81:                               ;   in Loop: Header=BB8_49 Depth=1
	s_mov_b64 s[72:73], exec
	v_mbcnt_lo_u32_b32 v0, s72, 0
	v_mbcnt_hi_u32_b32 v0, s73, v0
	v_cmp_eq_u32_e32 vcc, 0, v0
	s_waitcnt vmcnt(0) lgkmcnt(0)
	buffer_wbinvl1_vol
	s_and_saveexec_b64 s[62:63], vcc
	s_cbranch_execz .LBB8_83
; %bb.82:                               ;   in Loop: Header=BB8_49 Depth=1
	s_bcnt1_i32_b64 s72, s[72:73]
	v_mov_b32_e32 v0, s72
	v_mov_b32_e32 v1, v60
	ds_add_u64 v0, v[0:1]
	s_trap 2
.LBB8_83:                               ;   in Loop: Header=BB8_49 Depth=1
	s_or_b64 exec, exec, s[62:63]
	s_trap 2
	ds_read_b64 v[0:1], v0
	s_waitcnt lgkmcnt(0)
	buffer_load_dword v4, off, s[0:3], s33 offset:128 ; 4-byte Folded Reload
	buffer_load_dword v5, off, s[0:3], s33 offset:132 ; 4-byte Folded Reload
	s_waitcnt vmcnt(1)
	v_add_co_u32_e32 v4, vcc, v4, v57
	s_waitcnt vmcnt(0)
	v_addc_co_u32_e32 v5, vcc, 0, v5, vcc
	buffer_store_dword v4, off, s[0:3], s33 offset:128 ; 4-byte Folded Spill
	s_nop 0
	buffer_store_dword v5, off, s[0:3], s33 offset:132 ; 4-byte Folded Spill
	v_cmp_lt_u64_e32 vcc, v[0:1], v[4:5]
	s_and_saveexec_b64 s[62:63], vcc
	s_cbranch_execz .LBB8_92
; %bb.84:                               ;   in Loop: Header=BB8_49 Depth=1
	s_mov_b32 s92, 0
	s_mov_b64 s[72:73], 0
                                        ; implicit-def: $sgpr74_sgpr75
                                        ; implicit-def: $sgpr76_sgpr77
	s_branch .LBB8_86
.LBB8_85:                               ;   in Loop: Header=BB8_86 Depth=2
	s_or_b64 exec, exec, s[88:89]
	s_and_b64 s[78:79], exec, s[90:91]
	s_or_b64 s[72:73], s[78:79], s[72:73]
	s_andn2_b64 s[74:75], s[74:75], exec
	s_and_b64 s[78:79], s[76:77], exec
	s_or_b64 s[74:75], s[74:75], s[78:79]
	s_andn2_b64 exec, exec, s[72:73]
	s_cbranch_execz .LBB8_90
.LBB8_86:                               ;   Parent Loop BB8_49 Depth=1
                                        ; =>  This Inner Loop Header: Depth=2
	s_add_i32 s92, s92, 1
	s_cmpk_lg_i32 s92, 0x2710
	s_cselect_b64 s[78:79], -1, 0
	s_and_b64 vcc, exec, s[78:79]
	s_cbranch_vccz .LBB8_88
; %bb.87:                               ;   in Loop: Header=BB8_86 Depth=2
	s_mov_b64 s[90:91], -1
	s_or_b64 s[76:77], s[76:77], exec
	s_and_saveexec_b64 s[88:89], s[78:79]
	s_cbranch_execz .LBB8_85
	s_branch .LBB8_89
.LBB8_88:                               ;   in Loop: Header=BB8_86 Depth=2
	s_trap 2
	ds_read_b64 v[0:1], v0
	s_andn2_b64 s[78:79], s[78:79], exec
	s_mov_b32 s92, 0
	s_waitcnt vmcnt(0) lgkmcnt(0)
	flat_load_dword v0, v[0:1] glc
	s_waitcnt vmcnt(0) lgkmcnt(0)
	buffer_wbinvl1_vol
	v_cmp_eq_u32_e32 vcc, 0, v0
	s_and_b64 s[88:89], vcc, exec
	s_or_b64 s[78:79], s[78:79], s[88:89]
	s_mov_b64 s[90:91], -1
	s_or_b64 s[76:77], s[76:77], exec
	s_and_saveexec_b64 s[88:89], s[78:79]
	s_cbranch_execz .LBB8_85
.LBB8_89:                               ;   in Loop: Header=BB8_86 Depth=2
	s_sleep 1
	s_trap 2
	ds_read_b64 v[0:1], v0
	s_waitcnt lgkmcnt(0)
	buffer_load_dword v4, off, s[0:3], s33 offset:128 ; 4-byte Folded Reload
	buffer_load_dword v5, off, s[0:3], s33 offset:132 ; 4-byte Folded Reload
	s_andn2_b64 s[76:77], s[76:77], exec
	s_waitcnt vmcnt(0)
	v_cmp_ge_u64_e32 vcc, v[0:1], v[4:5]
	s_orn2_b64 s[90:91], vcc, exec
	s_branch .LBB8_85
.LBB8_90:                               ;   in Loop: Header=BB8_49 Depth=1
	s_or_b64 exec, exec, s[72:73]
	s_and_saveexec_b64 s[72:73], s[74:75]
	s_xor_b64 s[72:73], exec, s[72:73]
	s_cbranch_execz .LBB8_92
; %bb.91:                               ;   in Loop: Header=BB8_49 Depth=1
	ds_write_b32 v0, v26
	s_trap 2
.LBB8_92:                               ;   in Loop: Header=BB8_49 Depth=1
	s_or_b64 exec, exec, s[62:63]
	;;#ASMSTART
	s_wakeup
	;;#ASMEND
.LBB8_93:                               ;   in Loop: Header=BB8_49 Depth=1
	s_or_b64 exec, exec, s[60:61]
.LBB8_94:                               ;   in Loop: Header=BB8_49 Depth=1
	s_andn2_saveexec_b64 s[22:23], s[22:23]
	s_cbranch_execz .LBB8_96
; %bb.95:                               ;   in Loop: Header=BB8_49 Depth=1
	s_waitcnt vmcnt(0) lgkmcnt(0)
	buffer_wbinvl1_vol
	s_barrier
.LBB8_96:                               ;   in Loop: Header=BB8_49 Depth=1
	s_or_b64 exec, exec, s[22:23]
.LBB8_97:                               ;   in Loop: Header=BB8_49 Depth=1
	s_or_b64 exec, exec, s[20:21]
	s_trap 2
	ds_read_b32 v0, v0
	v_and_b32_e32 v1, 0x4000, v27
	v_cmp_ne_u32_e32 vcc, 0, v1
	s_and_b64 s[22:23], s[46:47], vcc
	s_and_saveexec_b64 s[20:21], s[22:23]
	s_cbranch_execz .LBB8_116
; %bb.98:                               ;   in Loop: Header=BB8_49 Depth=1
	s_and_saveexec_b64 s[22:23], s[42:43]
	s_xor_b64 s[22:23], exec, s[22:23]
	s_cbranch_execz .LBB8_113
; %bb.99:                               ;   in Loop: Header=BB8_49 Depth=1
	s_and_saveexec_b64 s[60:61], s[12:13]
	s_cbranch_execz .LBB8_112
; %bb.100:                              ;   in Loop: Header=BB8_49 Depth=1
	s_mov_b64 s[72:73], exec
	v_mbcnt_lo_u32_b32 v1, s72, 0
	v_mbcnt_hi_u32_b32 v1, s73, v1
	v_cmp_eq_u32_e32 vcc, 0, v1
	s_waitcnt vmcnt(0) lgkmcnt(0)
	buffer_wbinvl1_vol
	s_and_saveexec_b64 s[62:63], vcc
	s_cbranch_execz .LBB8_102
; %bb.101:                              ;   in Loop: Header=BB8_49 Depth=1
	s_bcnt1_i32_b64 s72, s[72:73]
	v_mov_b32_e32 v4, s72
	v_mov_b32_e32 v5, v60
	ds_add_u64 v0, v[4:5]
	s_trap 2
.LBB8_102:                              ;   in Loop: Header=BB8_49 Depth=1
	s_or_b64 exec, exec, s[62:63]
	s_trap 2
	ds_read_b64 v[4:5], v0
	s_waitcnt lgkmcnt(0)
	buffer_load_dword v6, off, s[0:3], s33 offset:128 ; 4-byte Folded Reload
	buffer_load_dword v7, off, s[0:3], s33 offset:132 ; 4-byte Folded Reload
	s_waitcnt vmcnt(1)
	v_add_co_u32_e32 v6, vcc, v6, v57
	s_waitcnt vmcnt(0)
	v_addc_co_u32_e32 v7, vcc, 0, v7, vcc
	buffer_store_dword v6, off, s[0:3], s33 offset:128 ; 4-byte Folded Spill
	s_nop 0
	buffer_store_dword v7, off, s[0:3], s33 offset:132 ; 4-byte Folded Spill
	v_cmp_lt_u64_e32 vcc, v[4:5], v[6:7]
	s_and_saveexec_b64 s[62:63], vcc
	s_cbranch_execz .LBB8_111
; %bb.103:                              ;   in Loop: Header=BB8_49 Depth=1
	s_mov_b32 s92, 0
	s_mov_b64 s[72:73], 0
                                        ; implicit-def: $sgpr74_sgpr75
                                        ; implicit-def: $sgpr76_sgpr77
	s_branch .LBB8_105
.LBB8_104:                              ;   in Loop: Header=BB8_105 Depth=2
	s_or_b64 exec, exec, s[88:89]
	s_and_b64 s[78:79], exec, s[90:91]
	s_or_b64 s[72:73], s[78:79], s[72:73]
	s_andn2_b64 s[74:75], s[74:75], exec
	s_and_b64 s[78:79], s[76:77], exec
	s_or_b64 s[74:75], s[74:75], s[78:79]
	s_andn2_b64 exec, exec, s[72:73]
	s_cbranch_execz .LBB8_109
.LBB8_105:                              ;   Parent Loop BB8_49 Depth=1
                                        ; =>  This Inner Loop Header: Depth=2
	s_add_i32 s92, s92, 1
	s_cmpk_lg_i32 s92, 0x2710
	s_cselect_b64 s[78:79], -1, 0
	s_and_b64 vcc, exec, s[78:79]
	s_cbranch_vccz .LBB8_107
; %bb.106:                              ;   in Loop: Header=BB8_105 Depth=2
	s_mov_b64 s[90:91], -1
	s_or_b64 s[76:77], s[76:77], exec
	s_and_saveexec_b64 s[88:89], s[78:79]
	s_cbranch_execz .LBB8_104
	s_branch .LBB8_108
.LBB8_107:                              ;   in Loop: Header=BB8_105 Depth=2
	s_trap 2
	ds_read_b64 v[4:5], v0
	s_andn2_b64 s[78:79], s[78:79], exec
	s_mov_b32 s92, 0
	s_waitcnt vmcnt(0) lgkmcnt(0)
	flat_load_dword v1, v[4:5] glc
	s_waitcnt vmcnt(0) lgkmcnt(0)
	buffer_wbinvl1_vol
	v_cmp_eq_u32_e32 vcc, 0, v1
	s_and_b64 s[88:89], vcc, exec
	s_or_b64 s[78:79], s[78:79], s[88:89]
	s_mov_b64 s[90:91], -1
	s_or_b64 s[76:77], s[76:77], exec
	s_and_saveexec_b64 s[88:89], s[78:79]
	s_cbranch_execz .LBB8_104
.LBB8_108:                              ;   in Loop: Header=BB8_105 Depth=2
	s_sleep 1
	s_trap 2
	ds_read_b64 v[4:5], v0
	s_waitcnt lgkmcnt(0)
	buffer_load_dword v6, off, s[0:3], s33 offset:128 ; 4-byte Folded Reload
	buffer_load_dword v7, off, s[0:3], s33 offset:132 ; 4-byte Folded Reload
	s_andn2_b64 s[76:77], s[76:77], exec
	s_waitcnt vmcnt(0)
	v_cmp_ge_u64_e32 vcc, v[4:5], v[6:7]
	s_orn2_b64 s[90:91], vcc, exec
	s_branch .LBB8_104
.LBB8_109:                              ;   in Loop: Header=BB8_49 Depth=1
	s_or_b64 exec, exec, s[72:73]
	s_and_saveexec_b64 s[72:73], s[74:75]
	s_xor_b64 s[72:73], exec, s[72:73]
	s_cbranch_execz .LBB8_111
; %bb.110:                              ;   in Loop: Header=BB8_49 Depth=1
	ds_write_b32 v0, v26
	s_trap 2
.LBB8_111:                              ;   in Loop: Header=BB8_49 Depth=1
	s_or_b64 exec, exec, s[62:63]
	;;#ASMSTART
	s_wakeup
	;;#ASMEND
.LBB8_112:                              ;   in Loop: Header=BB8_49 Depth=1
	s_or_b64 exec, exec, s[60:61]
.LBB8_113:                              ;   in Loop: Header=BB8_49 Depth=1
	s_andn2_saveexec_b64 s[22:23], s[22:23]
	s_cbranch_execz .LBB8_115
; %bb.114:                              ;   in Loop: Header=BB8_49 Depth=1
	s_waitcnt vmcnt(0) lgkmcnt(0)
	buffer_wbinvl1_vol
	s_barrier
.LBB8_115:                              ;   in Loop: Header=BB8_49 Depth=1
	s_or_b64 exec, exec, s[22:23]
.LBB8_116:                              ;   in Loop: Header=BB8_49 Depth=1
	s_or_b64 exec, exec, s[20:21]
	s_trap 2
	s_waitcnt lgkmcnt(0)
	ds_read_b64 v[4:5], v0
	s_waitcnt lgkmcnt(0)
	buffer_store_dword v4, off, s[0:3], s33 offset:244 ; 4-byte Folded Spill
	s_nop 0
	buffer_store_dword v5, off, s[0:3], s33 offset:248 ; 4-byte Folded Spill
	v_cmp_eq_u64_e32 vcc, 0, v[4:5]
	s_cbranch_vccnz .LBB8_124
; %bb.117:                              ;   in Loop: Header=BB8_49 Depth=1
	s_trap 2
	ds_read_b64 v[4:5], v0
	s_waitcnt lgkmcnt(0)
	buffer_store_dword v4, off, s[0:3], s33 offset:252 ; 4-byte Folded Spill
	s_nop 0
	buffer_store_dword v5, off, s[0:3], s33 offset:256 ; 4-byte Folded Spill
	v_cmp_eq_u64_e32 vcc, 0, v[4:5]
	s_cbranch_vccnz .LBB8_124
; %bb.118:                              ;   in Loop: Header=BB8_49 Depth=1
	s_mov_b64 s[22:23], -1
	s_and_saveexec_b64 s[20:21], s[14:15]
	s_cbranch_execz .LBB8_120
; %bb.119:                              ;   in Loop: Header=BB8_49 Depth=1
	ds_read_b32 v1, v0 offset:720
	s_waitcnt lgkmcnt(0)
	v_and_b32_e32 v1, 15, v1
	v_cmp_eq_u32_e32 vcc, 0, v1
	s_orn2_b64 s[22:23], vcc, exec
.LBB8_120:                              ;   in Loop: Header=BB8_49 Depth=1
	s_or_b64 exec, exec, s[20:21]
	s_and_saveexec_b64 s[20:21], s[16:17]
	s_cbranch_execz .LBB8_122
; %bb.121:                              ;   in Loop: Header=BB8_49 Depth=1
	ds_read_b32 v1, v0 offset:784
	s_waitcnt lgkmcnt(0)
	v_and_b32_e32 v1, 15, v1
	v_cmp_eq_u32_e32 vcc, 0, v1
	s_and_b64 s[60:61], s[22:23], vcc
	s_andn2_b64 s[22:23], s[22:23], exec
	s_and_b64 s[60:61], s[60:61], exec
	s_or_b64 s[22:23], s[22:23], s[60:61]
.LBB8_122:                              ;   in Loop: Header=BB8_49 Depth=1
	s_or_b64 exec, exec, s[20:21]
	s_xor_b64 s[22:23], s[22:23], -1
	v_cmp_eq_u32_e64 s[20:21], 0, v0
	v_cndmask_b32_e64 v0, 0, 1, s[22:23]
	s_mov_b64 s[62:63], -1
	v_cmp_ne_u32_e32 vcc, 0, v0
	s_cbranch_vccz .LBB8_125
; %bb.123:                              ;   in Loop: Header=BB8_49 Depth=1
	s_mov_b64 s[62:63], 0
	s_mov_b64 s[60:61], -1
	s_branch .LBB8_126
.LBB8_124:                              ;   in Loop: Header=BB8_49 Depth=1
	s_mov_b64 s[20:21], 0
	s_and_saveexec_b64 s[22:23], s[10:11]
	s_cbranch_execnz .LBB8_578
	s_branch .LBB8_596
.LBB8_125:                              ;   in Loop: Header=BB8_49 Depth=1
	s_mov_b64 s[60:61], 0
.LBB8_126:                              ;   in Loop: Header=BB8_49 Depth=1
	v_cndmask_b32_e64 v25, 0, v24, s[20:21]
	v_lshlrev_b32_e32 v0, 1, v25
	s_andn2_b64 vcc, exec, s[62:63]
	v_mov_b32_e32 v15, 0
	buffer_store_dword v0, off, s[0:3], s33 offset:236 ; 4-byte Folded Spill
	s_cbranch_vccnz .LBB8_262
; %bb.127:                              ;   in Loop: Header=BB8_49 Depth=1
	buffer_store_dword v24, off, s[0:3], s33 offset:268 ; 4-byte Folded Spill
	buffer_store_dword v25, off, s[0:3], s33 offset:260 ; 4-byte Folded Spill
	buffer_load_dword v0, off, s[0:3], s33 offset:296 ; 4-byte Folded Reload
	buffer_load_dword v4, off, s[0:3], s33 offset:252 ; 4-byte Folded Reload
	;; [unrolled: 1-line block ×3, first 2 shown]
	v_lshrrev_b32_e32 v26, 10, v25
	v_sub_u32_e32 v47, v26, v32
	s_mov_b64 s[22:23], 0
                                        ; implicit-def: $vgpr22_vgpr23
                                        ; implicit-def: $vgpr14_vgpr15
                                        ; implicit-def: $vgpr18_vgpr19
                                        ; implicit-def: $vgpr10_vgpr11
	s_waitcnt vmcnt(1)
	v_add_co_u32_e32 v58, vcc, v4, v0
	buffer_load_dword v0, off, s[0:3], s33 offset:300 ; 4-byte Folded Reload
	s_waitcnt vmcnt(0)
	v_addc_co_u32_e32 v59, vcc, v5, v0, vcc
	v_cmp_lt_i32_e32 vcc, 0, v47
	s_and_saveexec_b64 s[20:21], vcc
	s_cbranch_execz .LBB8_264
; %bb.128:                              ;   in Loop: Header=BB8_49 Depth=1
	buffer_store_dword v26, off, s[0:3], s33 offset:348 ; 4-byte Folded Spill
	buffer_store_dword v27, off, s[0:3], s33 offset:344 ; 4-byte Folded Spill
	s_trap 2
	ds_read_b64 v[4:5], v0
	buffer_load_dword v6, off, s[0:3], s33 offset:296 ; 4-byte Folded Reload
	buffer_load_dword v0, off, s[0:3], s33 offset:244 ; 4-byte Folded Reload
	;; [unrolled: 1-line block ×4, first 2 shown]
	s_mov_b64 s[72:73], 0
                                        ; implicit-def: $sgpr62_sgpr63
                                        ; implicit-def: $vgpr22_vgpr23
                                        ; implicit-def: $vgpr14_vgpr15
                                        ; implicit-def: $vgpr18_vgpr19
                                        ; implicit-def: $vgpr10_vgpr11
	s_waitcnt vmcnt(2)
	v_add_co_u32_e32 v0, vcc, v0, v6
	s_waitcnt vmcnt(0)
	v_addc_co_u32_e32 v1, vcc, v1, v7, vcc
	s_waitcnt lgkmcnt(0)
	v_add_co_u32_e32 v52, vcc, v4, v6
	v_addc_co_u32_e32 v53, vcc, v5, v7, vcc
	s_branch .LBB8_130
.LBB8_129:                              ;   in Loop: Header=BB8_130 Depth=2
	s_or_b64 exec, exec, s[74:75]
	v_lshrrev_b32_e32 v8, 16, v48
	v_lshrrev_b32_e32 v4, 16, v4
	v_and_or_b32 v35, v37, s48, v8
	v_and_or_b32 v37, v5, s48, v4
	v_lshrrev_b32_e32 v4, 16, v32
	v_lshrrev_b32_e32 v8, 16, v56
	v_and_or_b32 v27, v27, s48, v4
	v_lshrrev_b32_e32 v4, 16, v39
	v_and_or_b32 v34, v36, s48, v8
	;; [unrolled: 2-line block ×4, first 2 shown]
	v_and_or_b32 v28, v28, s48, v4
	v_lshrrev_b32_e32 v4, 16, v6
	v_and_or_b32 v29, v7, s48, v4
	global_store_dwordx4 v[58:59], v[34:37], off glc slc
	global_store_dwordx4 v[58:59], v[26:29], off offset:1024 glc slc
	buffer_load_dword v6, off, s[0:3], s33 offset:188 ; 4-byte Folded Reload
	buffer_load_dword v7, off, s[0:3], s33 offset:208 ; 4-byte Folded Reload
	v_mov_b32_e32 v9, 0x800
	buffer_load_dword v26, off, s[0:3], s33 offset:152 ; 4-byte Folded Reload
	v_cndmask_b32_e64 v8, 0, v30, s[72:73]
	s_waitcnt vmcnt(2)
	v_add_co_u32_e32 v4, vcc, v0, v6
	s_waitcnt vmcnt(1)
	v_addc_co_u32_e32 v5, vcc, v1, v7, vcc
	v_add_co_u32_e32 v6, vcc, v52, v6
	v_addc_co_u32_e32 v7, vcc, v53, v7, vcc
	s_waitcnt vmcnt(0)
	v_cndmask_b32_e64 v9, v9, v26, s[72:73]
	v_add_co_u32_e32 v58, vcc, v58, v9
	v_cndmask_b32_e64 v0, v0, v4, s[72:73]
	v_cndmask_b32_e64 v4, 0, v57, s[72:73]
	v_addc_co_u32_e32 v59, vcc, v59, v8, vcc
	v_sub_u32_e32 v47, v47, v4
	v_cmp_gt_i32_e32 vcc, 1, v47
	s_or_b64 s[22:23], vcc, s[22:23]
	s_andn2_b64 s[62:63], s[62:63], exec
	s_and_b64 s[74:75], s[72:73], exec
	v_cndmask_b32_e64 v1, v1, v5, s[72:73]
	v_cndmask_b32_e64 v53, v53, v7, s[72:73]
	;; [unrolled: 1-line block ×3, first 2 shown]
	s_or_b64 s[62:63], s[62:63], s[74:75]
	s_andn2_b64 exec, exec, s[22:23]
	s_cbranch_execz .LBB8_263
.LBB8_130:                              ;   Parent Loop BB8_49 Depth=1
                                        ; =>  This Inner Loop Header: Depth=2
	global_load_dwordx4 v[36:39], v[0:1], off glc slc
	global_load_dwordx4 v[26:29], v[0:1], off offset:1024 glc slc
	global_load_dwordx4 v[48:51], v[52:53], off glc slc
	global_load_dwordx4 v[32:35], v[52:53], off offset:1024 glc slc
	s_and_saveexec_b64 s[74:75], s[72:73]
	s_cbranch_execz .LBB8_196
; %bb.131:                              ;   in Loop: Header=BB8_130 Depth=2
	v_lshlrev_b32_e32 v4, 16, v22
	v_lshlrev_b32_e32 v5, 16, v18
	v_add_f32_e32 v4, v4, v5
	v_and_b32_e32 v5, 0x7f800000, v4
	v_cmp_ne_u32_e32 vcc, s38, v5
                                        ; implicit-def: $vgpr56
	s_and_saveexec_b64 s[72:73], vcc
	s_xor_b64 s[72:73], exec, s[72:73]
; %bb.132:                              ;   in Loop: Header=BB8_130 Depth=2
	v_bfe_u32 v5, v4, 16, 1
	v_add3_u32 v56, v4, v5, s39
                                        ; implicit-def: $vgpr4
; %bb.133:                              ;   in Loop: Header=BB8_130 Depth=2
	s_andn2_saveexec_b64 s[72:73], s[72:73]
; %bb.134:                              ;   in Loop: Header=BB8_130 Depth=2
	v_or_b32_e32 v5, 0x10000, v4
	v_cmp_eq_u32_sdwa vcc, v4, v60 src0_sel:WORD_0 src1_sel:DWORD
	v_cndmask_b32_e32 v56, v5, v4, vcc
; %bb.135:                              ;   in Loop: Header=BB8_130 Depth=2
	s_or_b64 exec, exec, s[72:73]
	v_and_b32_e32 v4, 0xffff0000, v22
	v_and_b32_e32 v5, 0xffff0000, v18
	v_add_f32_e32 v4, v4, v5
	v_and_b32_e32 v5, 0x7f800000, v4
	v_cmp_ne_u32_e32 vcc, s38, v5
                                        ; implicit-def: $vgpr22
	s_and_saveexec_b64 s[72:73], vcc
	s_xor_b64 s[72:73], exec, s[72:73]
; %bb.136:                              ;   in Loop: Header=BB8_130 Depth=2
	v_bfe_u32 v5, v4, 16, 1
	v_add3_u32 v22, v4, v5, s39
                                        ; implicit-def: $vgpr4
; %bb.137:                              ;   in Loop: Header=BB8_130 Depth=2
	s_andn2_saveexec_b64 s[72:73], s[72:73]
; %bb.138:                              ;   in Loop: Header=BB8_130 Depth=2
	v_or_b32_e32 v5, 0x10000, v4
	v_cmp_eq_u32_sdwa vcc, v4, v60 src0_sel:WORD_0 src1_sel:DWORD
	v_cndmask_b32_e32 v22, v5, v4, vcc
; %bb.139:                              ;   in Loop: Header=BB8_130 Depth=2
	s_or_b64 exec, exec, s[72:73]
	v_lshlrev_b32_e32 v4, 16, v23
	v_lshlrev_b32_e32 v5, 16, v19
	v_add_f32_e32 v4, v4, v5
	v_and_b32_e32 v5, 0x7f800000, v4
	v_cmp_ne_u32_e32 vcc, s38, v5
                                        ; implicit-def: $vgpr46
	s_and_saveexec_b64 s[72:73], vcc
	s_xor_b64 s[72:73], exec, s[72:73]
; %bb.140:                              ;   in Loop: Header=BB8_130 Depth=2
	v_bfe_u32 v5, v4, 16, 1
	v_add3_u32 v46, v4, v5, s39
                                        ; implicit-def: $vgpr4
; %bb.141:                              ;   in Loop: Header=BB8_130 Depth=2
	s_andn2_saveexec_b64 s[72:73], s[72:73]
; %bb.142:                              ;   in Loop: Header=BB8_130 Depth=2
	v_or_b32_e32 v5, 0x10000, v4
	v_cmp_eq_u32_sdwa vcc, v4, v60 src0_sel:WORD_0 src1_sel:DWORD
	v_cndmask_b32_e32 v46, v5, v4, vcc
; %bb.143:                              ;   in Loop: Header=BB8_130 Depth=2
	s_or_b64 exec, exec, s[72:73]
	v_and_b32_e32 v4, 0xffff0000, v23
	v_and_b32_e32 v5, 0xffff0000, v19
	v_add_f32_e32 v4, v4, v5
	v_and_b32_e32 v5, 0x7f800000, v4
	v_cmp_ne_u32_e32 vcc, s38, v5
                                        ; implicit-def: $vgpr23
	s_and_saveexec_b64 s[72:73], vcc
	s_xor_b64 s[72:73], exec, s[72:73]
; %bb.144:                              ;   in Loop: Header=BB8_130 Depth=2
	v_bfe_u32 v5, v4, 16, 1
	v_add3_u32 v23, v4, v5, s39
                                        ; implicit-def: $vgpr4
; %bb.145:                              ;   in Loop: Header=BB8_130 Depth=2
	s_andn2_saveexec_b64 s[72:73], s[72:73]
; %bb.146:                              ;   in Loop: Header=BB8_130 Depth=2
	v_or_b32_e32 v5, 0x10000, v4
	v_cmp_eq_u32_sdwa vcc, v4, v60 src0_sel:WORD_0 src1_sel:DWORD
	v_cndmask_b32_e32 v23, v5, v4, vcc
; %bb.147:                              ;   in Loop: Header=BB8_130 Depth=2
	s_or_b64 exec, exec, s[72:73]
	v_lshlrev_b32_e32 v4, 16, v24
	v_lshlrev_b32_e32 v5, 16, v20
	v_add_f32_e32 v4, v4, v5
	v_and_b32_e32 v5, 0x7f800000, v4
	v_cmp_ne_u32_e32 vcc, s38, v5
                                        ; implicit-def: $vgpr61
	s_and_saveexec_b64 s[72:73], vcc
	s_xor_b64 s[72:73], exec, s[72:73]
; %bb.148:                              ;   in Loop: Header=BB8_130 Depth=2
	v_bfe_u32 v5, v4, 16, 1
	v_add3_u32 v61, v4, v5, s39
                                        ; implicit-def: $vgpr4
; %bb.149:                              ;   in Loop: Header=BB8_130 Depth=2
	s_andn2_saveexec_b64 s[72:73], s[72:73]
; %bb.150:                              ;   in Loop: Header=BB8_130 Depth=2
	v_or_b32_e32 v5, 0x10000, v4
	v_cmp_eq_u32_sdwa vcc, v4, v60 src0_sel:WORD_0 src1_sel:DWORD
	v_cndmask_b32_e32 v61, v5, v4, vcc
; %bb.151:                              ;   in Loop: Header=BB8_130 Depth=2
	s_or_b64 exec, exec, s[72:73]
	v_and_b32_e32 v4, 0xffff0000, v24
	v_and_b32_e32 v5, 0xffff0000, v20
	v_add_f32_e32 v4, v4, v5
	v_and_b32_e32 v5, 0x7f800000, v4
	v_cmp_ne_u32_e32 vcc, s38, v5
                                        ; implicit-def: $vgpr24
	s_and_saveexec_b64 s[72:73], vcc
	s_xor_b64 s[72:73], exec, s[72:73]
; %bb.152:                              ;   in Loop: Header=BB8_130 Depth=2
	v_bfe_u32 v5, v4, 16, 1
	v_add3_u32 v24, v4, v5, s39
                                        ; implicit-def: $vgpr4
; %bb.153:                              ;   in Loop: Header=BB8_130 Depth=2
	s_andn2_saveexec_b64 s[72:73], s[72:73]
; %bb.154:                              ;   in Loop: Header=BB8_130 Depth=2
	v_or_b32_e32 v5, 0x10000, v4
	v_cmp_eq_u32_sdwa vcc, v4, v60 src0_sel:WORD_0 src1_sel:DWORD
	v_cndmask_b32_e32 v24, v5, v4, vcc
; %bb.155:                              ;   in Loop: Header=BB8_130 Depth=2
	s_or_b64 exec, exec, s[72:73]
	v_lshlrev_b32_e32 v4, 16, v25
	v_lshlrev_b32_e32 v5, 16, v21
	v_add_f32_e32 v5, v4, v5
	v_and_b32_e32 v4, 0x7f800000, v5
	v_cmp_ne_u32_e32 vcc, s38, v4
                                        ; implicit-def: $vgpr4
	s_and_saveexec_b64 s[72:73], vcc
	s_xor_b64 s[72:73], exec, s[72:73]
; %bb.156:                              ;   in Loop: Header=BB8_130 Depth=2
	v_bfe_u32 v4, v5, 16, 1
	v_add3_u32 v4, v5, v4, s39
                                        ; implicit-def: $vgpr5
; %bb.157:                              ;   in Loop: Header=BB8_130 Depth=2
	s_andn2_saveexec_b64 s[72:73], s[72:73]
; %bb.158:                              ;   in Loop: Header=BB8_130 Depth=2
	v_or_b32_e32 v4, 0x10000, v5
	v_cmp_eq_u32_sdwa vcc, v5, v60 src0_sel:WORD_0 src1_sel:DWORD
	v_cndmask_b32_e32 v4, v4, v5, vcc
; %bb.159:                              ;   in Loop: Header=BB8_130 Depth=2
	s_or_b64 exec, exec, s[72:73]
	v_and_b32_e32 v5, 0xffff0000, v25
	v_and_b32_e32 v6, 0xffff0000, v21
	v_add_f32_e32 v6, v5, v6
	v_and_b32_e32 v5, 0x7f800000, v6
	v_cmp_ne_u32_e32 vcc, s38, v5
                                        ; implicit-def: $vgpr5
	s_and_saveexec_b64 s[72:73], vcc
	s_xor_b64 s[72:73], exec, s[72:73]
; %bb.160:                              ;   in Loop: Header=BB8_130 Depth=2
	v_bfe_u32 v5, v6, 16, 1
	v_add3_u32 v5, v6, v5, s39
                                        ; implicit-def: $vgpr6
; %bb.161:                              ;   in Loop: Header=BB8_130 Depth=2
	s_andn2_saveexec_b64 s[72:73], s[72:73]
; %bb.162:                              ;   in Loop: Header=BB8_130 Depth=2
	v_or_b32_e32 v5, 0x10000, v6
	v_cmp_eq_u32_sdwa vcc, v6, v60 src0_sel:WORD_0 src1_sel:DWORD
	v_cndmask_b32_e32 v5, v5, v6, vcc
; %bb.163:                              ;   in Loop: Header=BB8_130 Depth=2
	s_or_b64 exec, exec, s[72:73]
	v_lshlrev_b32_e32 v6, 16, v14
	v_lshlrev_b32_e32 v7, 16, v10
	v_add_f32_e32 v6, v6, v7
	v_and_b32_e32 v7, 0x7f800000, v6
	v_cmp_ne_u32_e32 vcc, s38, v7
                                        ; implicit-def: $vgpr42
	s_and_saveexec_b64 s[72:73], vcc
	s_xor_b64 s[72:73], exec, s[72:73]
; %bb.164:                              ;   in Loop: Header=BB8_130 Depth=2
	v_bfe_u32 v7, v6, 16, 1
	v_add3_u32 v42, v6, v7, s39
                                        ; implicit-def: $vgpr6
; %bb.165:                              ;   in Loop: Header=BB8_130 Depth=2
	s_andn2_saveexec_b64 s[72:73], s[72:73]
; %bb.166:                              ;   in Loop: Header=BB8_130 Depth=2
	v_or_b32_e32 v7, 0x10000, v6
	v_cmp_eq_u32_sdwa vcc, v6, v60 src0_sel:WORD_0 src1_sel:DWORD
	v_cndmask_b32_e32 v42, v7, v6, vcc
; %bb.167:                              ;   in Loop: Header=BB8_130 Depth=2
	s_or_b64 exec, exec, s[72:73]
	v_and_b32_e32 v6, 0xffff0000, v14
	v_and_b32_e32 v7, 0xffff0000, v10
	v_add_f32_e32 v6, v6, v7
	v_and_b32_e32 v7, 0x7f800000, v6
	v_cmp_ne_u32_e32 vcc, s38, v7
                                        ; implicit-def: $vgpr14
	s_and_saveexec_b64 s[72:73], vcc
	s_xor_b64 s[72:73], exec, s[72:73]
; %bb.168:                              ;   in Loop: Header=BB8_130 Depth=2
	v_bfe_u32 v7, v6, 16, 1
	v_add3_u32 v14, v6, v7, s39
                                        ; implicit-def: $vgpr6
; %bb.169:                              ;   in Loop: Header=BB8_130 Depth=2
	s_andn2_saveexec_b64 s[72:73], s[72:73]
; %bb.170:                              ;   in Loop: Header=BB8_130 Depth=2
	v_or_b32_e32 v7, 0x10000, v6
	v_cmp_eq_u32_sdwa vcc, v6, v60 src0_sel:WORD_0 src1_sel:DWORD
	v_cndmask_b32_e32 v14, v7, v6, vcc
; %bb.171:                              ;   in Loop: Header=BB8_130 Depth=2
	s_or_b64 exec, exec, s[72:73]
	v_lshlrev_b32_e32 v6, 16, v15
	v_lshlrev_b32_e32 v7, 16, v11
	v_add_f32_e32 v6, v6, v7
	v_and_b32_e32 v7, 0x7f800000, v6
	v_cmp_ne_u32_e32 vcc, s38, v7
                                        ; implicit-def: $vgpr55
	s_and_saveexec_b64 s[72:73], vcc
	s_xor_b64 s[72:73], exec, s[72:73]
; %bb.172:                              ;   in Loop: Header=BB8_130 Depth=2
	v_bfe_u32 v7, v6, 16, 1
	v_add3_u32 v55, v6, v7, s39
                                        ; implicit-def: $vgpr6
; %bb.173:                              ;   in Loop: Header=BB8_130 Depth=2
	s_andn2_saveexec_b64 s[72:73], s[72:73]
; %bb.174:                              ;   in Loop: Header=BB8_130 Depth=2
	v_or_b32_e32 v7, 0x10000, v6
	v_cmp_eq_u32_sdwa vcc, v6, v60 src0_sel:WORD_0 src1_sel:DWORD
	v_cndmask_b32_e32 v55, v7, v6, vcc
; %bb.175:                              ;   in Loop: Header=BB8_130 Depth=2
	s_or_b64 exec, exec, s[72:73]
	v_and_b32_e32 v6, 0xffff0000, v15
	v_and_b32_e32 v7, 0xffff0000, v11
	v_add_f32_e32 v6, v6, v7
	v_and_b32_e32 v7, 0x7f800000, v6
	v_cmp_ne_u32_e32 vcc, s38, v7
                                        ; implicit-def: $vgpr15
	s_and_saveexec_b64 s[72:73], vcc
	s_xor_b64 s[72:73], exec, s[72:73]
; %bb.176:                              ;   in Loop: Header=BB8_130 Depth=2
	v_bfe_u32 v7, v6, 16, 1
	v_add3_u32 v15, v6, v7, s39
                                        ; implicit-def: $vgpr6
; %bb.177:                              ;   in Loop: Header=BB8_130 Depth=2
	s_andn2_saveexec_b64 s[72:73], s[72:73]
; %bb.178:                              ;   in Loop: Header=BB8_130 Depth=2
	v_or_b32_e32 v7, 0x10000, v6
	v_cmp_eq_u32_sdwa vcc, v6, v60 src0_sel:WORD_0 src1_sel:DWORD
	v_cndmask_b32_e32 v15, v7, v6, vcc
; %bb.179:                              ;   in Loop: Header=BB8_130 Depth=2
	s_or_b64 exec, exec, s[72:73]
	v_lshlrev_b32_e32 v6, 16, v16
	v_lshlrev_b32_e32 v7, 16, v12
	v_add_f32_e32 v6, v6, v7
	v_and_b32_e32 v7, 0x7f800000, v6
	v_cmp_ne_u32_e32 vcc, s38, v7
                                        ; implicit-def: $vgpr43
	s_and_saveexec_b64 s[72:73], vcc
	s_xor_b64 s[72:73], exec, s[72:73]
; %bb.180:                              ;   in Loop: Header=BB8_130 Depth=2
	v_bfe_u32 v7, v6, 16, 1
	v_add3_u32 v43, v6, v7, s39
                                        ; implicit-def: $vgpr6
; %bb.181:                              ;   in Loop: Header=BB8_130 Depth=2
	s_andn2_saveexec_b64 s[72:73], s[72:73]
; %bb.182:                              ;   in Loop: Header=BB8_130 Depth=2
	v_or_b32_e32 v7, 0x10000, v6
	v_cmp_eq_u32_sdwa vcc, v6, v60 src0_sel:WORD_0 src1_sel:DWORD
	v_cndmask_b32_e32 v43, v7, v6, vcc
; %bb.183:                              ;   in Loop: Header=BB8_130 Depth=2
	s_or_b64 exec, exec, s[72:73]
	v_and_b32_e32 v6, 0xffff0000, v16
	v_and_b32_e32 v7, 0xffff0000, v12
	v_add_f32_e32 v6, v6, v7
	v_and_b32_e32 v7, 0x7f800000, v6
	v_cmp_ne_u32_e32 vcc, s38, v7
                                        ; implicit-def: $vgpr16
	s_and_saveexec_b64 s[72:73], vcc
	s_xor_b64 s[72:73], exec, s[72:73]
; %bb.184:                              ;   in Loop: Header=BB8_130 Depth=2
	v_bfe_u32 v7, v6, 16, 1
	v_add3_u32 v16, v6, v7, s39
                                        ; implicit-def: $vgpr6
; %bb.185:                              ;   in Loop: Header=BB8_130 Depth=2
	s_andn2_saveexec_b64 s[72:73], s[72:73]
; %bb.186:                              ;   in Loop: Header=BB8_130 Depth=2
	v_or_b32_e32 v7, 0x10000, v6
	v_cmp_eq_u32_sdwa vcc, v6, v60 src0_sel:WORD_0 src1_sel:DWORD
	v_cndmask_b32_e32 v16, v7, v6, vcc
; %bb.187:                              ;   in Loop: Header=BB8_130 Depth=2
	s_or_b64 exec, exec, s[72:73]
	v_lshlrev_b32_e32 v6, 16, v17
	v_lshlrev_b32_e32 v7, 16, v13
	v_add_f32_e32 v7, v6, v7
	v_and_b32_e32 v6, 0x7f800000, v7
	v_cmp_ne_u32_e32 vcc, s38, v6
                                        ; implicit-def: $vgpr6
	s_and_saveexec_b64 s[72:73], vcc
	s_xor_b64 s[72:73], exec, s[72:73]
; %bb.188:                              ;   in Loop: Header=BB8_130 Depth=2
	v_bfe_u32 v6, v7, 16, 1
	v_add3_u32 v6, v7, v6, s39
                                        ; implicit-def: $vgpr7
; %bb.189:                              ;   in Loop: Header=BB8_130 Depth=2
	s_andn2_saveexec_b64 s[72:73], s[72:73]
; %bb.190:                              ;   in Loop: Header=BB8_130 Depth=2
	v_or_b32_e32 v6, 0x10000, v7
	v_cmp_eq_u32_sdwa vcc, v7, v60 src0_sel:WORD_0 src1_sel:DWORD
	v_cndmask_b32_e32 v6, v6, v7, vcc
; %bb.191:                              ;   in Loop: Header=BB8_130 Depth=2
	s_or_b64 exec, exec, s[72:73]
	v_and_b32_e32 v7, 0xffff0000, v17
	v_and_b32_e32 v8, 0xffff0000, v13
	v_add_f32_e32 v8, v7, v8
	v_and_b32_e32 v7, 0x7f800000, v8
	v_cmp_ne_u32_e32 vcc, s38, v7
                                        ; implicit-def: $vgpr7
	s_and_saveexec_b64 s[72:73], vcc
	s_xor_b64 s[72:73], exec, s[72:73]
; %bb.192:                              ;   in Loop: Header=BB8_130 Depth=2
	v_bfe_u32 v7, v8, 16, 1
	v_add3_u32 v7, v8, v7, s39
                                        ; implicit-def: $vgpr8
; %bb.193:                              ;   in Loop: Header=BB8_130 Depth=2
	s_andn2_saveexec_b64 s[72:73], s[72:73]
; %bb.194:                              ;   in Loop: Header=BB8_130 Depth=2
	v_or_b32_e32 v7, 0x10000, v8
	v_cmp_eq_u32_sdwa vcc, v8, v60 src0_sel:WORD_0 src1_sel:DWORD
	v_cndmask_b32_e32 v7, v7, v8, vcc
; %bb.195:                              ;   in Loop: Header=BB8_130 Depth=2
	s_or_b64 exec, exec, s[72:73]
	v_lshrrev_b32_e32 v4, 16, v4
	v_lshrrev_b32_e32 v8, 16, v46
	v_and_or_b32 v25, v5, s48, v4
	v_lshrrev_b32_e32 v4, 16, v55
	v_and_or_b32 v23, v23, s48, v8
	;; [unrolled: 2-line block ×6, first 2 shown]
	v_and_or_b32 v16, v16, s48, v4
	v_lshrrev_b32_e32 v4, 16, v6
	v_and_or_b32 v17, v7, s48, v4
	global_store_dwordx4 v[58:59], v[22:25], off glc slc
	global_store_dwordx4 v[58:59], v[14:17], off offset:1024 glc slc
	buffer_load_dword v4, off, s[0:3], s33 offset:152 ; 4-byte Folded Reload
	s_waitcnt vmcnt(0)
	v_add_co_u32_e32 v58, vcc, v58, v4
	v_addc_co_u32_e32 v59, vcc, v59, v30, vcc
.LBB8_196:                              ;   in Loop: Header=BB8_130 Depth=2
	s_or_b64 exec, exec, s[74:75]
	buffer_load_dword v4, off, s[0:3], s33 offset:152 ; 4-byte Folded Reload
	v_sub_u32_e32 v47, v47, v57
	v_cmp_lt_i32_e64 s[72:73], 0, v47
	s_waitcnt vmcnt(0)
	v_add_co_u32_e32 v0, vcc, v0, v4
	v_addc_co_u32_e32 v1, vcc, v1, v30, vcc
	v_add_co_u32_e32 v52, vcc, v52, v4
	v_addc_co_u32_e32 v53, vcc, v53, v30, vcc
	s_and_saveexec_b64 s[74:75], s[72:73]
	s_cbranch_execz .LBB8_198
; %bb.197:                              ;   in Loop: Header=BB8_130 Depth=2
	global_load_dwordx4 v[22:25], v[0:1], off glc slc
	global_load_dwordx4 v[14:17], v[0:1], off offset:1024 glc slc
	global_load_dwordx4 v[18:21], v[52:53], off glc slc
	global_load_dwordx4 v[10:13], v[52:53], off offset:1024 glc slc
	v_add_co_u32_e32 v0, vcc, 0x800, v0
	v_addc_co_u32_e32 v1, vcc, 0, v1, vcc
	v_add_co_u32_e32 v52, vcc, 0x800, v52
	v_addc_co_u32_e32 v53, vcc, 0, v53, vcc
.LBB8_198:                              ;   in Loop: Header=BB8_130 Depth=2
	s_or_b64 exec, exec, s[74:75]
	v_lshlrev_b32_e32 v4, 16, v36
	v_lshlrev_b32_e32 v5, 16, v48
	v_add_f32_e32 v4, v4, v5
	v_and_b32_e32 v5, 0x7f800000, v4
	v_cmp_ne_u32_e32 vcc, s38, v5
                                        ; implicit-def: $vgpr56
	s_and_saveexec_b64 s[74:75], vcc
	s_xor_b64 s[74:75], exec, s[74:75]
; %bb.199:                              ;   in Loop: Header=BB8_130 Depth=2
	v_bfe_u32 v5, v4, 16, 1
	v_add3_u32 v56, v4, v5, s39
                                        ; implicit-def: $vgpr4
; %bb.200:                              ;   in Loop: Header=BB8_130 Depth=2
	s_andn2_saveexec_b64 s[74:75], s[74:75]
; %bb.201:                              ;   in Loop: Header=BB8_130 Depth=2
	v_or_b32_e32 v5, 0x10000, v4
	v_cmp_eq_u32_sdwa vcc, v4, v60 src0_sel:WORD_0 src1_sel:DWORD
	v_cndmask_b32_e32 v56, v5, v4, vcc
; %bb.202:                              ;   in Loop: Header=BB8_130 Depth=2
	s_or_b64 exec, exec, s[74:75]
	v_and_b32_e32 v4, 0xffff0000, v36
	v_and_b32_e32 v5, 0xffff0000, v48
	v_add_f32_e32 v4, v4, v5
	v_and_b32_e32 v5, 0x7f800000, v4
	v_cmp_ne_u32_e32 vcc, s38, v5
                                        ; implicit-def: $vgpr36
	s_and_saveexec_b64 s[74:75], vcc
	s_xor_b64 s[74:75], exec, s[74:75]
; %bb.203:                              ;   in Loop: Header=BB8_130 Depth=2
	v_bfe_u32 v5, v4, 16, 1
	v_add3_u32 v36, v4, v5, s39
                                        ; implicit-def: $vgpr4
; %bb.204:                              ;   in Loop: Header=BB8_130 Depth=2
	s_andn2_saveexec_b64 s[74:75], s[74:75]
; %bb.205:                              ;   in Loop: Header=BB8_130 Depth=2
	v_or_b32_e32 v5, 0x10000, v4
	v_cmp_eq_u32_sdwa vcc, v4, v60 src0_sel:WORD_0 src1_sel:DWORD
	v_cndmask_b32_e32 v36, v5, v4, vcc
; %bb.206:                              ;   in Loop: Header=BB8_130 Depth=2
	s_or_b64 exec, exec, s[74:75]
	v_lshlrev_b32_e32 v4, 16, v37
	v_lshlrev_b32_e32 v5, 16, v49
	v_add_f32_e32 v4, v4, v5
	v_and_b32_e32 v5, 0x7f800000, v4
	v_cmp_ne_u32_e32 vcc, s38, v5
                                        ; implicit-def: $vgpr48
	s_and_saveexec_b64 s[74:75], vcc
	s_xor_b64 s[74:75], exec, s[74:75]
; %bb.207:                              ;   in Loop: Header=BB8_130 Depth=2
	v_bfe_u32 v5, v4, 16, 1
	v_add3_u32 v48, v4, v5, s39
                                        ; implicit-def: $vgpr4
; %bb.208:                              ;   in Loop: Header=BB8_130 Depth=2
	s_andn2_saveexec_b64 s[74:75], s[74:75]
; %bb.209:                              ;   in Loop: Header=BB8_130 Depth=2
	v_or_b32_e32 v5, 0x10000, v4
	v_cmp_eq_u32_sdwa vcc, v4, v60 src0_sel:WORD_0 src1_sel:DWORD
	v_cndmask_b32_e32 v48, v5, v4, vcc
; %bb.210:                              ;   in Loop: Header=BB8_130 Depth=2
	s_or_b64 exec, exec, s[74:75]
	v_and_b32_e32 v4, 0xffff0000, v37
	v_and_b32_e32 v5, 0xffff0000, v49
	v_add_f32_e32 v4, v4, v5
	v_and_b32_e32 v5, 0x7f800000, v4
	v_cmp_ne_u32_e32 vcc, s38, v5
                                        ; implicit-def: $vgpr37
	s_and_saveexec_b64 s[74:75], vcc
	s_xor_b64 s[74:75], exec, s[74:75]
; %bb.211:                              ;   in Loop: Header=BB8_130 Depth=2
	v_bfe_u32 v5, v4, 16, 1
	v_add3_u32 v37, v4, v5, s39
                                        ; implicit-def: $vgpr4
; %bb.212:                              ;   in Loop: Header=BB8_130 Depth=2
	s_andn2_saveexec_b64 s[74:75], s[74:75]
; %bb.213:                              ;   in Loop: Header=BB8_130 Depth=2
	v_or_b32_e32 v5, 0x10000, v4
	v_cmp_eq_u32_sdwa vcc, v4, v60 src0_sel:WORD_0 src1_sel:DWORD
	v_cndmask_b32_e32 v37, v5, v4, vcc
; %bb.214:                              ;   in Loop: Header=BB8_130 Depth=2
	s_or_b64 exec, exec, s[74:75]
	v_lshlrev_b32_e32 v4, 16, v38
	v_lshlrev_b32_e32 v5, 16, v50
	v_add_f32_e32 v4, v4, v5
	v_and_b32_e32 v5, 0x7f800000, v4
	v_cmp_ne_u32_e32 vcc, s38, v5
                                        ; implicit-def: $vgpr49
	s_and_saveexec_b64 s[74:75], vcc
	s_xor_b64 s[74:75], exec, s[74:75]
; %bb.215:                              ;   in Loop: Header=BB8_130 Depth=2
	v_bfe_u32 v5, v4, 16, 1
	v_add3_u32 v49, v4, v5, s39
                                        ; implicit-def: $vgpr4
; %bb.216:                              ;   in Loop: Header=BB8_130 Depth=2
	s_andn2_saveexec_b64 s[74:75], s[74:75]
; %bb.217:                              ;   in Loop: Header=BB8_130 Depth=2
	v_or_b32_e32 v5, 0x10000, v4
	v_cmp_eq_u32_sdwa vcc, v4, v60 src0_sel:WORD_0 src1_sel:DWORD
	v_cndmask_b32_e32 v49, v5, v4, vcc
; %bb.218:                              ;   in Loop: Header=BB8_130 Depth=2
	s_or_b64 exec, exec, s[74:75]
	v_and_b32_e32 v4, 0xffff0000, v38
	v_and_b32_e32 v5, 0xffff0000, v50
	v_add_f32_e32 v4, v4, v5
	v_and_b32_e32 v5, 0x7f800000, v4
	v_cmp_ne_u32_e32 vcc, s38, v5
                                        ; implicit-def: $vgpr38
	s_and_saveexec_b64 s[74:75], vcc
	s_xor_b64 s[74:75], exec, s[74:75]
; %bb.219:                              ;   in Loop: Header=BB8_130 Depth=2
	v_bfe_u32 v5, v4, 16, 1
	v_add3_u32 v38, v4, v5, s39
                                        ; implicit-def: $vgpr4
; %bb.220:                              ;   in Loop: Header=BB8_130 Depth=2
	s_andn2_saveexec_b64 s[74:75], s[74:75]
; %bb.221:                              ;   in Loop: Header=BB8_130 Depth=2
	v_or_b32_e32 v5, 0x10000, v4
	v_cmp_eq_u32_sdwa vcc, v4, v60 src0_sel:WORD_0 src1_sel:DWORD
	v_cndmask_b32_e32 v38, v5, v4, vcc
; %bb.222:                              ;   in Loop: Header=BB8_130 Depth=2
	s_or_b64 exec, exec, s[74:75]
	v_lshlrev_b32_e32 v4, 16, v39
	v_lshlrev_b32_e32 v5, 16, v51
	v_add_f32_e32 v5, v4, v5
	v_and_b32_e32 v4, 0x7f800000, v5
	v_cmp_ne_u32_e32 vcc, s38, v4
                                        ; implicit-def: $vgpr4
	s_and_saveexec_b64 s[74:75], vcc
	s_xor_b64 s[74:75], exec, s[74:75]
; %bb.223:                              ;   in Loop: Header=BB8_130 Depth=2
	v_bfe_u32 v4, v5, 16, 1
	v_add3_u32 v4, v5, v4, s39
                                        ; implicit-def: $vgpr5
; %bb.224:                              ;   in Loop: Header=BB8_130 Depth=2
	s_andn2_saveexec_b64 s[74:75], s[74:75]
; %bb.225:                              ;   in Loop: Header=BB8_130 Depth=2
	v_or_b32_e32 v4, 0x10000, v5
	v_cmp_eq_u32_sdwa vcc, v5, v60 src0_sel:WORD_0 src1_sel:DWORD
	v_cndmask_b32_e32 v4, v4, v5, vcc
; %bb.226:                              ;   in Loop: Header=BB8_130 Depth=2
	s_or_b64 exec, exec, s[74:75]
	v_and_b32_e32 v5, 0xffff0000, v39
	v_and_b32_e32 v6, 0xffff0000, v51
	v_add_f32_e32 v6, v5, v6
	v_and_b32_e32 v5, 0x7f800000, v6
	v_cmp_ne_u32_e32 vcc, s38, v5
                                        ; implicit-def: $vgpr5
	s_and_saveexec_b64 s[74:75], vcc
	s_xor_b64 s[74:75], exec, s[74:75]
; %bb.227:                              ;   in Loop: Header=BB8_130 Depth=2
	v_bfe_u32 v5, v6, 16, 1
	v_add3_u32 v5, v6, v5, s39
                                        ; implicit-def: $vgpr6
; %bb.228:                              ;   in Loop: Header=BB8_130 Depth=2
	s_andn2_saveexec_b64 s[74:75], s[74:75]
; %bb.229:                              ;   in Loop: Header=BB8_130 Depth=2
	v_or_b32_e32 v5, 0x10000, v6
	v_cmp_eq_u32_sdwa vcc, v6, v60 src0_sel:WORD_0 src1_sel:DWORD
	v_cndmask_b32_e32 v5, v5, v6, vcc
; %bb.230:                              ;   in Loop: Header=BB8_130 Depth=2
	s_or_b64 exec, exec, s[74:75]
	v_lshlrev_b32_e32 v6, 16, v26
	v_lshlrev_b32_e32 v7, 16, v32
	v_add_f32_e32 v6, v6, v7
	v_and_b32_e32 v7, 0x7f800000, v6
	v_cmp_ne_u32_e32 vcc, s38, v7
                                        ; implicit-def: $vgpr39
	s_and_saveexec_b64 s[74:75], vcc
	s_xor_b64 s[74:75], exec, s[74:75]
; %bb.231:                              ;   in Loop: Header=BB8_130 Depth=2
	v_bfe_u32 v7, v6, 16, 1
	v_add3_u32 v39, v6, v7, s39
                                        ; implicit-def: $vgpr6
; %bb.232:                              ;   in Loop: Header=BB8_130 Depth=2
	s_andn2_saveexec_b64 s[74:75], s[74:75]
; %bb.233:                              ;   in Loop: Header=BB8_130 Depth=2
	v_or_b32_e32 v7, 0x10000, v6
	v_cmp_eq_u32_sdwa vcc, v6, v60 src0_sel:WORD_0 src1_sel:DWORD
	v_cndmask_b32_e32 v39, v7, v6, vcc
; %bb.234:                              ;   in Loop: Header=BB8_130 Depth=2
	s_or_b64 exec, exec, s[74:75]
	v_and_b32_e32 v6, 0xffff0000, v26
	v_and_b32_e32 v7, 0xffff0000, v32
	v_add_f32_e32 v6, v6, v7
	v_and_b32_e32 v7, 0x7f800000, v6
	v_cmp_ne_u32_e32 vcc, s38, v7
                                        ; implicit-def: $vgpr26
	s_and_saveexec_b64 s[74:75], vcc
	s_xor_b64 s[74:75], exec, s[74:75]
; %bb.235:                              ;   in Loop: Header=BB8_130 Depth=2
	v_bfe_u32 v7, v6, 16, 1
	v_add3_u32 v26, v6, v7, s39
                                        ; implicit-def: $vgpr6
; %bb.236:                              ;   in Loop: Header=BB8_130 Depth=2
	s_andn2_saveexec_b64 s[74:75], s[74:75]
; %bb.237:                              ;   in Loop: Header=BB8_130 Depth=2
	v_or_b32_e32 v7, 0x10000, v6
	v_cmp_eq_u32_sdwa vcc, v6, v60 src0_sel:WORD_0 src1_sel:DWORD
	v_cndmask_b32_e32 v26, v7, v6, vcc
; %bb.238:                              ;   in Loop: Header=BB8_130 Depth=2
	s_or_b64 exec, exec, s[74:75]
	v_lshlrev_b32_e32 v6, 16, v27
	v_lshlrev_b32_e32 v7, 16, v33
	v_add_f32_e32 v6, v6, v7
	v_and_b32_e32 v7, 0x7f800000, v6
	v_cmp_ne_u32_e32 vcc, s38, v7
                                        ; implicit-def: $vgpr32
	s_and_saveexec_b64 s[74:75], vcc
	s_xor_b64 s[74:75], exec, s[74:75]
; %bb.239:                              ;   in Loop: Header=BB8_130 Depth=2
	v_bfe_u32 v7, v6, 16, 1
	v_add3_u32 v32, v6, v7, s39
                                        ; implicit-def: $vgpr6
; %bb.240:                              ;   in Loop: Header=BB8_130 Depth=2
	s_andn2_saveexec_b64 s[74:75], s[74:75]
; %bb.241:                              ;   in Loop: Header=BB8_130 Depth=2
	v_or_b32_e32 v7, 0x10000, v6
	v_cmp_eq_u32_sdwa vcc, v6, v60 src0_sel:WORD_0 src1_sel:DWORD
	v_cndmask_b32_e32 v32, v7, v6, vcc
; %bb.242:                              ;   in Loop: Header=BB8_130 Depth=2
	s_or_b64 exec, exec, s[74:75]
	v_and_b32_e32 v6, 0xffff0000, v27
	v_and_b32_e32 v7, 0xffff0000, v33
	v_add_f32_e32 v6, v6, v7
	v_and_b32_e32 v7, 0x7f800000, v6
	v_cmp_ne_u32_e32 vcc, s38, v7
                                        ; implicit-def: $vgpr27
	s_and_saveexec_b64 s[74:75], vcc
	s_xor_b64 s[74:75], exec, s[74:75]
; %bb.243:                              ;   in Loop: Header=BB8_130 Depth=2
	v_bfe_u32 v7, v6, 16, 1
	v_add3_u32 v27, v6, v7, s39
                                        ; implicit-def: $vgpr6
; %bb.244:                              ;   in Loop: Header=BB8_130 Depth=2
	s_andn2_saveexec_b64 s[74:75], s[74:75]
; %bb.245:                              ;   in Loop: Header=BB8_130 Depth=2
	v_or_b32_e32 v7, 0x10000, v6
	v_cmp_eq_u32_sdwa vcc, v6, v60 src0_sel:WORD_0 src1_sel:DWORD
	v_cndmask_b32_e32 v27, v7, v6, vcc
; %bb.246:                              ;   in Loop: Header=BB8_130 Depth=2
	s_or_b64 exec, exec, s[74:75]
	v_lshlrev_b32_e32 v6, 16, v28
	v_lshlrev_b32_e32 v7, 16, v34
	v_add_f32_e32 v6, v6, v7
	v_and_b32_e32 v7, 0x7f800000, v6
	v_cmp_ne_u32_e32 vcc, s38, v7
                                        ; implicit-def: $vgpr33
	s_and_saveexec_b64 s[74:75], vcc
	s_xor_b64 s[74:75], exec, s[74:75]
; %bb.247:                              ;   in Loop: Header=BB8_130 Depth=2
	v_bfe_u32 v7, v6, 16, 1
	v_add3_u32 v33, v6, v7, s39
                                        ; implicit-def: $vgpr6
; %bb.248:                              ;   in Loop: Header=BB8_130 Depth=2
	s_andn2_saveexec_b64 s[74:75], s[74:75]
; %bb.249:                              ;   in Loop: Header=BB8_130 Depth=2
	v_or_b32_e32 v7, 0x10000, v6
	v_cmp_eq_u32_sdwa vcc, v6, v60 src0_sel:WORD_0 src1_sel:DWORD
	v_cndmask_b32_e32 v33, v7, v6, vcc
; %bb.250:                              ;   in Loop: Header=BB8_130 Depth=2
	s_or_b64 exec, exec, s[74:75]
	v_and_b32_e32 v6, 0xffff0000, v28
	v_and_b32_e32 v7, 0xffff0000, v34
	v_add_f32_e32 v6, v6, v7
	v_and_b32_e32 v7, 0x7f800000, v6
	v_cmp_ne_u32_e32 vcc, s38, v7
                                        ; implicit-def: $vgpr28
	s_and_saveexec_b64 s[74:75], vcc
	s_xor_b64 s[74:75], exec, s[74:75]
; %bb.251:                              ;   in Loop: Header=BB8_130 Depth=2
	v_bfe_u32 v7, v6, 16, 1
	v_add3_u32 v28, v6, v7, s39
                                        ; implicit-def: $vgpr6
; %bb.252:                              ;   in Loop: Header=BB8_130 Depth=2
	s_andn2_saveexec_b64 s[74:75], s[74:75]
; %bb.253:                              ;   in Loop: Header=BB8_130 Depth=2
	v_or_b32_e32 v7, 0x10000, v6
	v_cmp_eq_u32_sdwa vcc, v6, v60 src0_sel:WORD_0 src1_sel:DWORD
	v_cndmask_b32_e32 v28, v7, v6, vcc
; %bb.254:                              ;   in Loop: Header=BB8_130 Depth=2
	s_or_b64 exec, exec, s[74:75]
	v_lshlrev_b32_e32 v6, 16, v29
	v_lshlrev_b32_e32 v7, 16, v35
	v_add_f32_e32 v7, v6, v7
	v_and_b32_e32 v6, 0x7f800000, v7
	v_cmp_ne_u32_e32 vcc, s38, v6
                                        ; implicit-def: $vgpr6
	s_and_saveexec_b64 s[74:75], vcc
	s_xor_b64 s[74:75], exec, s[74:75]
; %bb.255:                              ;   in Loop: Header=BB8_130 Depth=2
	v_bfe_u32 v6, v7, 16, 1
	v_add3_u32 v6, v7, v6, s39
                                        ; implicit-def: $vgpr7
; %bb.256:                              ;   in Loop: Header=BB8_130 Depth=2
	s_andn2_saveexec_b64 s[74:75], s[74:75]
; %bb.257:                              ;   in Loop: Header=BB8_130 Depth=2
	v_or_b32_e32 v6, 0x10000, v7
	v_cmp_eq_u32_sdwa vcc, v7, v60 src0_sel:WORD_0 src1_sel:DWORD
	v_cndmask_b32_e32 v6, v6, v7, vcc
; %bb.258:                              ;   in Loop: Header=BB8_130 Depth=2
	s_or_b64 exec, exec, s[74:75]
	v_and_b32_e32 v7, 0xffff0000, v29
	v_and_b32_e32 v8, 0xffff0000, v35
	v_add_f32_e32 v8, v7, v8
	v_and_b32_e32 v7, 0x7f800000, v8
	v_cmp_ne_u32_e32 vcc, s38, v7
                                        ; implicit-def: $vgpr7
	s_and_saveexec_b64 s[74:75], vcc
	s_xor_b64 s[74:75], exec, s[74:75]
; %bb.259:                              ;   in Loop: Header=BB8_130 Depth=2
	v_bfe_u32 v7, v8, 16, 1
	v_add3_u32 v7, v8, v7, s39
                                        ; implicit-def: $vgpr8
; %bb.260:                              ;   in Loop: Header=BB8_130 Depth=2
	s_andn2_saveexec_b64 s[74:75], s[74:75]
	s_cbranch_execz .LBB8_129
; %bb.261:                              ;   in Loop: Header=BB8_130 Depth=2
	v_or_b32_e32 v7, 0x10000, v8
	v_cmp_eq_u32_sdwa vcc, v8, v60 src0_sel:WORD_0 src1_sel:DWORD
	v_cndmask_b32_e32 v7, v7, v8, vcc
	s_branch .LBB8_129
.LBB8_262:                              ;   in Loop: Header=BB8_49 Depth=1
	buffer_load_dword v16, off, s[0:3], s33 offset:272 ; 4-byte Folded Reload
	v_mov_b32_e32 v4, v32
	s_and_saveexec_b64 s[22:23], s[60:61]
	s_cbranch_execnz .LBB8_446
	s_branch .LBB8_577
.LBB8_263:                              ;   in Loop: Header=BB8_49 Depth=1
	s_or_b64 exec, exec, s[22:23]
	buffer_load_dword v27, off, s[0:3], s33 offset:344 ; 4-byte Folded Reload
	buffer_load_dword v28, off, s[0:3], s33 offset:304 ; 4-byte Folded Reload
	;; [unrolled: 1-line block ×10, first 2 shown]
	s_and_b64 s[22:23], s[62:63], exec
.LBB8_264:                              ;   in Loop: Header=BB8_49 Depth=1
	s_or_b64 exec, exec, s[20:21]
	s_and_saveexec_b64 s[20:21], s[22:23]
	s_cbranch_execz .LBB8_330
; %bb.265:                              ;   in Loop: Header=BB8_49 Depth=1
	v_lshlrev_b32_e32 v0, 16, v22
	v_lshlrev_b32_e32 v1, 16, v18
	v_add_f32_e32 v1, v1, v0
	v_and_b32_e32 v0, 0x7f800000, v1
	v_cmp_ne_u32_e32 vcc, s38, v0
                                        ; implicit-def: $vgpr0
	s_and_saveexec_b64 s[22:23], vcc
	s_xor_b64 s[22:23], exec, s[22:23]
; %bb.266:                              ;   in Loop: Header=BB8_49 Depth=1
	v_bfe_u32 v0, v1, 16, 1
	v_add3_u32 v0, v1, v0, s39
                                        ; implicit-def: $vgpr1
; %bb.267:                              ;   in Loop: Header=BB8_49 Depth=1
	s_andn2_saveexec_b64 s[22:23], s[22:23]
; %bb.268:                              ;   in Loop: Header=BB8_49 Depth=1
	v_or_b32_e32 v0, 0x10000, v1
	v_cmp_eq_u32_sdwa vcc, v1, v60 src0_sel:WORD_0 src1_sel:DWORD
	v_cndmask_b32_e32 v0, v0, v1, vcc
; %bb.269:                              ;   in Loop: Header=BB8_49 Depth=1
	s_or_b64 exec, exec, s[22:23]
	v_and_b32_e32 v1, 0xffff0000, v22
	v_and_b32_e32 v4, 0xffff0000, v18
	v_add_f32_e32 v4, v4, v1
	v_and_b32_e32 v1, 0x7f800000, v4
	v_cmp_ne_u32_e32 vcc, s38, v1
                                        ; implicit-def: $vgpr1
	s_and_saveexec_b64 s[22:23], vcc
	s_xor_b64 s[22:23], exec, s[22:23]
; %bb.270:                              ;   in Loop: Header=BB8_49 Depth=1
	v_bfe_u32 v1, v4, 16, 1
	v_add3_u32 v1, v4, v1, s39
                                        ; implicit-def: $vgpr4
; %bb.271:                              ;   in Loop: Header=BB8_49 Depth=1
	s_andn2_saveexec_b64 s[22:23], s[22:23]
; %bb.272:                              ;   in Loop: Header=BB8_49 Depth=1
	v_or_b32_e32 v1, 0x10000, v4
	v_cmp_eq_u32_sdwa vcc, v4, v60 src0_sel:WORD_0 src1_sel:DWORD
	v_cndmask_b32_e32 v1, v1, v4, vcc
; %bb.273:                              ;   in Loop: Header=BB8_49 Depth=1
	s_or_b64 exec, exec, s[22:23]
	v_lshlrev_b32_e32 v4, 16, v23
	v_lshlrev_b32_e32 v5, 16, v19
	v_add_f32_e32 v4, v5, v4
	v_and_b32_e32 v5, 0x7f800000, v4
	v_cmp_ne_u32_e32 vcc, s38, v5
                                        ; implicit-def: $vgpr18
	s_and_saveexec_b64 s[22:23], vcc
	s_xor_b64 s[22:23], exec, s[22:23]
; %bb.274:                              ;   in Loop: Header=BB8_49 Depth=1
	v_bfe_u32 v5, v4, 16, 1
	v_add3_u32 v18, v4, v5, s39
                                        ; implicit-def: $vgpr4
; %bb.275:                              ;   in Loop: Header=BB8_49 Depth=1
	s_andn2_saveexec_b64 s[22:23], s[22:23]
; %bb.276:                              ;   in Loop: Header=BB8_49 Depth=1
	v_or_b32_e32 v5, 0x10000, v4
	v_cmp_eq_u32_sdwa vcc, v4, v60 src0_sel:WORD_0 src1_sel:DWORD
	v_cndmask_b32_e32 v18, v5, v4, vcc
; %bb.277:                              ;   in Loop: Header=BB8_49 Depth=1
	s_or_b64 exec, exec, s[22:23]
	v_and_b32_e32 v4, 0xffff0000, v23
	v_and_b32_e32 v5, 0xffff0000, v19
	v_add_f32_e32 v4, v5, v4
	v_and_b32_e32 v5, 0x7f800000, v4
	v_cmp_ne_u32_e32 vcc, s38, v5
                                        ; implicit-def: $vgpr19
	s_and_saveexec_b64 s[22:23], vcc
	s_xor_b64 s[22:23], exec, s[22:23]
; %bb.278:                              ;   in Loop: Header=BB8_49 Depth=1
	v_bfe_u32 v5, v4, 16, 1
	v_add3_u32 v19, v4, v5, s39
                                        ; implicit-def: $vgpr4
; %bb.279:                              ;   in Loop: Header=BB8_49 Depth=1
	s_andn2_saveexec_b64 s[22:23], s[22:23]
; %bb.280:                              ;   in Loop: Header=BB8_49 Depth=1
	v_or_b32_e32 v5, 0x10000, v4
	v_cmp_eq_u32_sdwa vcc, v4, v60 src0_sel:WORD_0 src1_sel:DWORD
	v_cndmask_b32_e32 v19, v5, v4, vcc
; %bb.281:                              ;   in Loop: Header=BB8_49 Depth=1
	s_or_b64 exec, exec, s[22:23]
	v_lshlrev_b32_e32 v4, 16, v24
	v_lshlrev_b32_e32 v5, 16, v20
	v_add_f32_e32 v4, v5, v4
	v_and_b32_e32 v5, 0x7f800000, v4
	v_cmp_ne_u32_e32 vcc, s38, v5
                                        ; implicit-def: $vgpr22
	s_and_saveexec_b64 s[22:23], vcc
	s_xor_b64 s[22:23], exec, s[22:23]
; %bb.282:                              ;   in Loop: Header=BB8_49 Depth=1
	v_bfe_u32 v5, v4, 16, 1
	v_add3_u32 v22, v4, v5, s39
                                        ; implicit-def: $vgpr4
; %bb.283:                              ;   in Loop: Header=BB8_49 Depth=1
	s_andn2_saveexec_b64 s[22:23], s[22:23]
; %bb.284:                              ;   in Loop: Header=BB8_49 Depth=1
	v_or_b32_e32 v5, 0x10000, v4
	v_cmp_eq_u32_sdwa vcc, v4, v60 src0_sel:WORD_0 src1_sel:DWORD
	v_cndmask_b32_e32 v22, v5, v4, vcc
; %bb.285:                              ;   in Loop: Header=BB8_49 Depth=1
	s_or_b64 exec, exec, s[22:23]
	v_and_b32_e32 v4, 0xffff0000, v24
	v_and_b32_e32 v5, 0xffff0000, v20
	v_add_f32_e32 v4, v5, v4
	v_and_b32_e32 v5, 0x7f800000, v4
	v_cmp_ne_u32_e32 vcc, s38, v5
                                        ; implicit-def: $vgpr20
	s_and_saveexec_b64 s[22:23], vcc
	s_xor_b64 s[22:23], exec, s[22:23]
; %bb.286:                              ;   in Loop: Header=BB8_49 Depth=1
	v_bfe_u32 v5, v4, 16, 1
	v_add3_u32 v20, v4, v5, s39
                                        ; implicit-def: $vgpr4
; %bb.287:                              ;   in Loop: Header=BB8_49 Depth=1
	s_andn2_saveexec_b64 s[22:23], s[22:23]
; %bb.288:                              ;   in Loop: Header=BB8_49 Depth=1
	v_or_b32_e32 v5, 0x10000, v4
	v_cmp_eq_u32_sdwa vcc, v4, v60 src0_sel:WORD_0 src1_sel:DWORD
	v_cndmask_b32_e32 v20, v5, v4, vcc
; %bb.289:                              ;   in Loop: Header=BB8_49 Depth=1
	s_or_b64 exec, exec, s[22:23]
	v_lshlrev_b32_e32 v4, 16, v25
	v_lshlrev_b32_e32 v5, 16, v21
	v_add_f32_e32 v5, v5, v4
	v_and_b32_e32 v4, 0x7f800000, v5
	v_cmp_ne_u32_e32 vcc, s38, v4
                                        ; implicit-def: $vgpr4
	s_and_saveexec_b64 s[22:23], vcc
	s_xor_b64 s[22:23], exec, s[22:23]
; %bb.290:                              ;   in Loop: Header=BB8_49 Depth=1
	v_bfe_u32 v4, v5, 16, 1
	v_add3_u32 v4, v5, v4, s39
                                        ; implicit-def: $vgpr5
; %bb.291:                              ;   in Loop: Header=BB8_49 Depth=1
	s_andn2_saveexec_b64 s[22:23], s[22:23]
; %bb.292:                              ;   in Loop: Header=BB8_49 Depth=1
	v_or_b32_e32 v4, 0x10000, v5
	v_cmp_eq_u32_sdwa vcc, v5, v60 src0_sel:WORD_0 src1_sel:DWORD
	v_cndmask_b32_e32 v4, v4, v5, vcc
; %bb.293:                              ;   in Loop: Header=BB8_49 Depth=1
	s_or_b64 exec, exec, s[22:23]
	v_and_b32_e32 v5, 0xffff0000, v25
	v_and_b32_e32 v6, 0xffff0000, v21
	v_add_f32_e32 v6, v6, v5
	v_and_b32_e32 v5, 0x7f800000, v6
	v_cmp_ne_u32_e32 vcc, s38, v5
                                        ; implicit-def: $vgpr5
	s_and_saveexec_b64 s[22:23], vcc
	s_xor_b64 s[22:23], exec, s[22:23]
; %bb.294:                              ;   in Loop: Header=BB8_49 Depth=1
	v_bfe_u32 v5, v6, 16, 1
	v_add3_u32 v5, v6, v5, s39
                                        ; implicit-def: $vgpr6
; %bb.295:                              ;   in Loop: Header=BB8_49 Depth=1
	s_andn2_saveexec_b64 s[22:23], s[22:23]
; %bb.296:                              ;   in Loop: Header=BB8_49 Depth=1
	v_or_b32_e32 v5, 0x10000, v6
	v_cmp_eq_u32_sdwa vcc, v6, v60 src0_sel:WORD_0 src1_sel:DWORD
	v_cndmask_b32_e32 v5, v5, v6, vcc
; %bb.297:                              ;   in Loop: Header=BB8_49 Depth=1
	s_or_b64 exec, exec, s[22:23]
	v_lshlrev_b32_e32 v6, 16, v14
	v_lshlrev_b32_e32 v7, 16, v10
	v_add_f32_e32 v6, v7, v6
	v_and_b32_e32 v7, 0x7f800000, v6
	v_cmp_ne_u32_e32 vcc, s38, v7
                                        ; implicit-def: $vgpr21
	s_and_saveexec_b64 s[22:23], vcc
	s_xor_b64 s[22:23], exec, s[22:23]
; %bb.298:                              ;   in Loop: Header=BB8_49 Depth=1
	v_bfe_u32 v7, v6, 16, 1
	v_add3_u32 v21, v6, v7, s39
                                        ; implicit-def: $vgpr6
; %bb.299:                              ;   in Loop: Header=BB8_49 Depth=1
	s_andn2_saveexec_b64 s[22:23], s[22:23]
; %bb.300:                              ;   in Loop: Header=BB8_49 Depth=1
	v_or_b32_e32 v7, 0x10000, v6
	v_cmp_eq_u32_sdwa vcc, v6, v60 src0_sel:WORD_0 src1_sel:DWORD
	v_cndmask_b32_e32 v21, v7, v6, vcc
; %bb.301:                              ;   in Loop: Header=BB8_49 Depth=1
	s_or_b64 exec, exec, s[22:23]
	v_and_b32_e32 v6, 0xffff0000, v14
	v_and_b32_e32 v7, 0xffff0000, v10
	v_add_f32_e32 v6, v7, v6
	v_and_b32_e32 v7, 0x7f800000, v6
	v_cmp_ne_u32_e32 vcc, s38, v7
                                        ; implicit-def: $vgpr10
	s_and_saveexec_b64 s[22:23], vcc
	s_xor_b64 s[22:23], exec, s[22:23]
; %bb.302:                              ;   in Loop: Header=BB8_49 Depth=1
	v_bfe_u32 v7, v6, 16, 1
	v_add3_u32 v10, v6, v7, s39
                                        ; implicit-def: $vgpr6
; %bb.303:                              ;   in Loop: Header=BB8_49 Depth=1
	s_andn2_saveexec_b64 s[22:23], s[22:23]
; %bb.304:                              ;   in Loop: Header=BB8_49 Depth=1
	v_or_b32_e32 v7, 0x10000, v6
	v_cmp_eq_u32_sdwa vcc, v6, v60 src0_sel:WORD_0 src1_sel:DWORD
	v_cndmask_b32_e32 v10, v7, v6, vcc
; %bb.305:                              ;   in Loop: Header=BB8_49 Depth=1
	s_or_b64 exec, exec, s[22:23]
	v_lshlrev_b32_e32 v6, 16, v15
	v_lshlrev_b32_e32 v7, 16, v11
	v_add_f32_e32 v6, v7, v6
	v_and_b32_e32 v7, 0x7f800000, v6
	v_cmp_ne_u32_e32 vcc, s38, v7
                                        ; implicit-def: $vgpr14
	s_and_saveexec_b64 s[22:23], vcc
	s_xor_b64 s[22:23], exec, s[22:23]
; %bb.306:                              ;   in Loop: Header=BB8_49 Depth=1
	v_bfe_u32 v7, v6, 16, 1
	v_add3_u32 v14, v6, v7, s39
                                        ; implicit-def: $vgpr6
; %bb.307:                              ;   in Loop: Header=BB8_49 Depth=1
	s_andn2_saveexec_b64 s[22:23], s[22:23]
; %bb.308:                              ;   in Loop: Header=BB8_49 Depth=1
	v_or_b32_e32 v7, 0x10000, v6
	v_cmp_eq_u32_sdwa vcc, v6, v60 src0_sel:WORD_0 src1_sel:DWORD
	v_cndmask_b32_e32 v14, v7, v6, vcc
; %bb.309:                              ;   in Loop: Header=BB8_49 Depth=1
	s_or_b64 exec, exec, s[22:23]
	v_and_b32_e32 v6, 0xffff0000, v15
	v_and_b32_e32 v7, 0xffff0000, v11
	v_add_f32_e32 v6, v7, v6
	v_and_b32_e32 v7, 0x7f800000, v6
	v_cmp_ne_u32_e32 vcc, s38, v7
                                        ; implicit-def: $vgpr11
	s_and_saveexec_b64 s[22:23], vcc
	s_xor_b64 s[22:23], exec, s[22:23]
; %bb.310:                              ;   in Loop: Header=BB8_49 Depth=1
	v_bfe_u32 v7, v6, 16, 1
	v_add3_u32 v11, v6, v7, s39
                                        ; implicit-def: $vgpr6
; %bb.311:                              ;   in Loop: Header=BB8_49 Depth=1
	s_andn2_saveexec_b64 s[22:23], s[22:23]
; %bb.312:                              ;   in Loop: Header=BB8_49 Depth=1
	v_or_b32_e32 v7, 0x10000, v6
	v_cmp_eq_u32_sdwa vcc, v6, v60 src0_sel:WORD_0 src1_sel:DWORD
	v_cndmask_b32_e32 v11, v7, v6, vcc
; %bb.313:                              ;   in Loop: Header=BB8_49 Depth=1
	s_or_b64 exec, exec, s[22:23]
	v_lshlrev_b32_e32 v6, 16, v16
	v_lshlrev_b32_e32 v7, 16, v12
	v_add_f32_e32 v6, v7, v6
	v_and_b32_e32 v7, 0x7f800000, v6
	v_cmp_ne_u32_e32 vcc, s38, v7
                                        ; implicit-def: $vgpr15
	s_and_saveexec_b64 s[22:23], vcc
	s_xor_b64 s[22:23], exec, s[22:23]
; %bb.314:                              ;   in Loop: Header=BB8_49 Depth=1
	v_bfe_u32 v7, v6, 16, 1
	v_add3_u32 v15, v6, v7, s39
                                        ; implicit-def: $vgpr6
; %bb.315:                              ;   in Loop: Header=BB8_49 Depth=1
	s_andn2_saveexec_b64 s[22:23], s[22:23]
; %bb.316:                              ;   in Loop: Header=BB8_49 Depth=1
	v_or_b32_e32 v7, 0x10000, v6
	v_cmp_eq_u32_sdwa vcc, v6, v60 src0_sel:WORD_0 src1_sel:DWORD
	v_cndmask_b32_e32 v15, v7, v6, vcc
; %bb.317:                              ;   in Loop: Header=BB8_49 Depth=1
	s_or_b64 exec, exec, s[22:23]
	v_and_b32_e32 v6, 0xffff0000, v16
	v_and_b32_e32 v7, 0xffff0000, v12
	v_add_f32_e32 v6, v7, v6
	v_and_b32_e32 v7, 0x7f800000, v6
	v_cmp_ne_u32_e32 vcc, s38, v7
                                        ; implicit-def: $vgpr12
	s_and_saveexec_b64 s[22:23], vcc
	s_xor_b64 s[22:23], exec, s[22:23]
; %bb.318:                              ;   in Loop: Header=BB8_49 Depth=1
	v_bfe_u32 v7, v6, 16, 1
	v_add3_u32 v12, v6, v7, s39
                                        ; implicit-def: $vgpr6
; %bb.319:                              ;   in Loop: Header=BB8_49 Depth=1
	s_andn2_saveexec_b64 s[22:23], s[22:23]
; %bb.320:                              ;   in Loop: Header=BB8_49 Depth=1
	v_or_b32_e32 v7, 0x10000, v6
	v_cmp_eq_u32_sdwa vcc, v6, v60 src0_sel:WORD_0 src1_sel:DWORD
	v_cndmask_b32_e32 v12, v7, v6, vcc
; %bb.321:                              ;   in Loop: Header=BB8_49 Depth=1
	s_or_b64 exec, exec, s[22:23]
	v_lshlrev_b32_e32 v6, 16, v17
	v_lshlrev_b32_e32 v7, 16, v13
	v_add_f32_e32 v7, v7, v6
	v_and_b32_e32 v6, 0x7f800000, v7
	v_cmp_ne_u32_e32 vcc, s38, v6
                                        ; implicit-def: $vgpr6
	s_and_saveexec_b64 s[22:23], vcc
	s_xor_b64 s[22:23], exec, s[22:23]
; %bb.322:                              ;   in Loop: Header=BB8_49 Depth=1
	v_bfe_u32 v6, v7, 16, 1
	v_add3_u32 v6, v7, v6, s39
                                        ; implicit-def: $vgpr7
; %bb.323:                              ;   in Loop: Header=BB8_49 Depth=1
	s_andn2_saveexec_b64 s[22:23], s[22:23]
; %bb.324:                              ;   in Loop: Header=BB8_49 Depth=1
	v_or_b32_e32 v6, 0x10000, v7
	v_cmp_eq_u32_sdwa vcc, v7, v60 src0_sel:WORD_0 src1_sel:DWORD
	v_cndmask_b32_e32 v6, v6, v7, vcc
; %bb.325:                              ;   in Loop: Header=BB8_49 Depth=1
	s_or_b64 exec, exec, s[22:23]
	v_and_b32_e32 v7, 0xffff0000, v17
	v_and_b32_e32 v8, 0xffff0000, v13
	v_add_f32_e32 v8, v8, v7
	v_and_b32_e32 v7, 0x7f800000, v8
	v_cmp_ne_u32_e32 vcc, s38, v7
                                        ; implicit-def: $vgpr7
	s_and_saveexec_b64 s[22:23], vcc
	s_xor_b64 s[22:23], exec, s[22:23]
; %bb.326:                              ;   in Loop: Header=BB8_49 Depth=1
	v_bfe_u32 v7, v8, 16, 1
	v_add3_u32 v7, v8, v7, s39
                                        ; implicit-def: $vgpr8
; %bb.327:                              ;   in Loop: Header=BB8_49 Depth=1
	s_andn2_saveexec_b64 s[22:23], s[22:23]
; %bb.328:                              ;   in Loop: Header=BB8_49 Depth=1
	v_or_b32_e32 v7, 0x10000, v8
	v_cmp_eq_u32_sdwa vcc, v8, v60 src0_sel:WORD_0 src1_sel:DWORD
	v_cndmask_b32_e32 v7, v7, v8, vcc
; %bb.329:                              ;   in Loop: Header=BB8_49 Depth=1
	s_or_b64 exec, exec, s[22:23]
	v_lshrrev_b32_e32 v0, 16, v0
	v_and_or_b32 v16, v1, s48, v0
	v_lshrrev_b32_e32 v0, 16, v22
	v_lshrrev_b32_e32 v8, 16, v18
	v_and_or_b32 v18, v20, s48, v0
	v_lshrrev_b32_e32 v0, 16, v4
	v_and_or_b32 v17, v19, s48, v8
	v_and_or_b32 v19, v5, s48, v0
	v_lshrrev_b32_e32 v0, 16, v14
	v_and_or_b32 v9, v11, s48, v0
	v_lshrrev_b32_e32 v0, 16, v21
	;; [unrolled: 2-line block ×4, first 2 shown]
	v_and_or_b32 v11, v7, s48, v0
	global_store_dwordx4 v[58:59], v[16:19], off glc slc
	global_store_dwordx4 v[58:59], v[8:11], off offset:1024 glc slc
.LBB8_330:                              ;   in Loop: Header=BB8_49 Depth=1
	s_or_b64 exec, exec, s[20:21]
	buffer_load_dword v1, off, s[0:3], s33 offset:236 ; 4-byte Folded Reload
	s_waitcnt vmcnt(1)
	v_lshlrev_b32_e32 v0, 11, v26
                                        ; implicit-def: $vgpr15
                                        ; implicit-def: $vgpr16
                                        ; implicit-def: $vgpr4
	s_waitcnt vmcnt(0)
	v_cmp_ne_u32_e32 vcc, v1, v0
	s_and_saveexec_b64 s[62:63], vcc
	s_cbranch_execz .LBB8_445
; %bb.331:                              ;   in Loop: Header=BB8_49 Depth=1
	buffer_load_dword v1, off, s[0:3], s33 offset:236 ; 4-byte Folded Reload
	buffer_load_dword v4, off, s[0:3], s33 offset:272 ; 4-byte Folded Reload
	s_mov_b64 s[74:75], 0
	s_waitcnt vmcnt(1)
	v_sub_u32_e32 v5, v1, v0
	v_lshlrev_b32_e32 v1, 6, v47
	s_waitcnt vmcnt(0)
	v_sub_u32_e32 v1, v4, v1
	v_ashrrev_i32_e32 v4, 31, v1
	v_lshrrev_b32_e32 v4, 26, v4
	v_add_u32_e32 v4, v1, v4
	v_ashrrev_i32_e32 v6, 6, v4
	v_and_b32_e32 v4, 0xffffffc0, v4
	v_sub_u32_e32 v1, v1, v4
	v_lshlrev_b32_e32 v4, 4, v1
	v_lshl_add_u32 v7, v6, 10, v4
	v_add_u32_e32 v4, v7, v0
	v_sub_u32_e32 v15, v5, v7
	v_ashrrev_i32_e32 v7, 31, v5
	v_lshrrev_b32_e32 v7, 22, v7
	v_add_u32_e32 v7, v5, v7
	v_and_b32_e32 v12, 0xfffffc00, v7
	v_sub_u32_e32 v13, v5, v12
	v_ashrrev_i32_e32 v8, 10, v7
	v_cmp_lt_i32_e64 s[20:21], 15, v13
	v_addc_co_u32_e64 v7, vcc, 0, v8, s[20:21]
	v_sub_u32_e32 v14, v7, v6
	buffer_load_dword v6, off, s[0:3], s33 offset:252 ; 4-byte Folded Reload
	buffer_load_dword v7, off, s[0:3], s33 offset:256 ; 4-byte Folded Reload
	v_ashrrev_i32_e32 v5, 31, v4
	s_waitcnt vmcnt(1)
	v_add_co_u32_e32 v10, vcc, v4, v6
	s_waitcnt vmcnt(0)
	v_addc_co_u32_e32 v11, vcc, v5, v7, vcc
	v_cmp_lt_i32_e32 vcc, 15, v15
	s_and_saveexec_b64 s[72:73], vcc
	s_cbranch_execz .LBB8_408
; %bb.332:                              ;   in Loop: Header=BB8_49 Depth=1
	s_trap 2
	ds_read_b64 v[6:7], v0
	buffer_load_dword v8, off, s[0:3], s33 offset:244 ; 4-byte Folded Reload
	buffer_load_dword v9, off, s[0:3], s33 offset:248 ; 4-byte Folded Reload
	s_mov_b64 s[78:79], 0
                                        ; implicit-def: $sgpr76_sgpr77
	s_waitcnt vmcnt(1)
	v_add_co_u32_e32 v16, vcc, v4, v8
	s_waitcnt vmcnt(0)
	v_addc_co_u32_e32 v17, vcc, v5, v9, vcc
	s_waitcnt lgkmcnt(0)
	v_add_co_u32_e32 v18, vcc, v6, v4
	v_addc_co_u32_e32 v19, vcc, v7, v5, vcc
	s_branch .LBB8_334
.LBB8_333:                              ;   in Loop: Header=BB8_334 Depth=2
	s_or_b64 exec, exec, s[22:23]
	v_cmp_gt_i32_e32 vcc, 16, v15
	s_or_b64 s[74:75], vcc, s[74:75]
	s_andn2_b64 s[22:23], s[76:77], exec
	s_and_b64 s[76:77], s[78:79], exec
	s_or_b64 s[76:77], s[22:23], s[76:77]
	s_andn2_b64 exec, exec, s[74:75]
	s_cbranch_execz .LBB8_407
.LBB8_334:                              ;   Parent Loop BB8_49 Depth=1
                                        ; =>  This Loop Header: Depth=2
                                        ;       Child Loop BB8_335 Depth 3
                                        ;       Child Loop BB8_372 Depth 3
	s_lshr_b32 s92, s33, 6
	s_add_i32 s92, s92, 64
	s_mov_b64 s[88:89], -1
	s_mov_b64 s[90:91], 0
.LBB8_335:                              ;   Parent Loop BB8_49 Depth=1
                                        ;     Parent Loop BB8_334 Depth=2
                                        ; =>    This Inner Loop Header: Depth=3
	s_cmp_eq_u32 s90, 1
	s_cselect_b64 s[22:23], -1, 0
	v_cndmask_b32_e64 v9, v17, v19, s[22:23]
	v_cndmask_b32_e64 v8, v16, v18, s[22:23]
	global_load_dwordx4 v[4:7], v[8:9], off glc slc
	v_mov_b32_e32 v20, s92
	s_cmp_eq_u32 s90, 0
	s_mov_b64 s[90:91], 1
	s_mov_b32 s92, s35
	s_waitcnt vmcnt(0)
	buffer_store_dword v5, v20, s[0:3], 0 offen offset:4
	buffer_store_dword v4, v20, s[0:3], 0 offen
	buffer_store_dword v7, v20, s[0:3], 0 offen offset:12
	buffer_store_dword v6, v20, s[0:3], 0 offen offset:8
	v_add_co_u32_e32 v4, vcc, s36, v8
	v_addc_co_u32_e32 v5, vcc, 0, v9, vcc
	s_cselect_b64 vcc, -1, 0
	v_cndmask_b32_e32 v17, v17, v5, vcc
	v_cndmask_b32_e32 v16, v16, v4, vcc
	v_cndmask_b32_e64 v19, v19, v5, s[22:23]
	v_cndmask_b32_e64 v18, v18, v4, s[22:23]
	s_and_b64 vcc, exec, s[88:89]
	s_mov_b64 s[88:89], 0
	s_cbranch_vccnz .LBB8_335
; %bb.336:                              ;   in Loop: Header=BB8_334 Depth=2
	s_and_saveexec_b64 s[22:23], s[78:79]
	s_cbranch_execz .LBB8_370
; %bb.337:                              ;   in Loop: Header=BB8_334 Depth=2
	buffer_load_dword v6, off, s[0:3], s33 offset:96
	buffer_load_dword v25, off, s[0:3], s33 offset:100
	;; [unrolled: 1-line block ×8, first 2 shown]
	s_waitcnt vmcnt(7)
	v_lshlrev_b32_e32 v4, 16, v6
	s_waitcnt vmcnt(4)
	v_lshlrev_b32_e32 v8, 16, v7
	v_add_f32_e32 v8, v4, v8
	v_and_b32_e32 v4, 0x7f800000, v8
	v_cmp_ne_u32_e32 vcc, s38, v4
                                        ; implicit-def: $vgpr4
	s_and_saveexec_b64 s[78:79], vcc
	s_xor_b64 s[78:79], exec, s[78:79]
; %bb.338:                              ;   in Loop: Header=BB8_334 Depth=2
	v_bfe_u32 v4, v8, 16, 1
	v_add3_u32 v4, v8, v4, s39
                                        ; implicit-def: $vgpr8
; %bb.339:                              ;   in Loop: Header=BB8_334 Depth=2
	s_andn2_saveexec_b64 s[78:79], s[78:79]
; %bb.340:                              ;   in Loop: Header=BB8_334 Depth=2
	v_or_b32_e32 v4, 0x10000, v8
	v_cmp_eq_u32_sdwa vcc, v8, v60 src0_sel:WORD_0 src1_sel:DWORD
	v_cndmask_b32_e32 v4, v4, v8, vcc
; %bb.341:                              ;   in Loop: Header=BB8_334 Depth=2
	s_or_b64 exec, exec, s[78:79]
	v_and_b32_e32 v6, 0xffff0000, v6
	v_and_b32_e32 v7, 0xffff0000, v7
	v_add_f32_e32 v6, v6, v7
	v_and_b32_e32 v7, 0x7f800000, v6
	v_cmp_ne_u32_e32 vcc, s38, v7
                                        ; implicit-def: $vgpr21
	s_and_saveexec_b64 s[78:79], vcc
	s_xor_b64 s[78:79], exec, s[78:79]
; %bb.342:                              ;   in Loop: Header=BB8_334 Depth=2
	v_bfe_u32 v7, v6, 16, 1
	v_add3_u32 v21, v6, v7, s39
                                        ; implicit-def: $vgpr6
; %bb.343:                              ;   in Loop: Header=BB8_334 Depth=2
	s_andn2_saveexec_b64 s[78:79], s[78:79]
; %bb.344:                              ;   in Loop: Header=BB8_334 Depth=2
	v_or_b32_e32 v7, 0x10000, v6
	v_cmp_eq_u32_sdwa vcc, v6, v60 src0_sel:WORD_0 src1_sel:DWORD
	v_cndmask_b32_e32 v21, v7, v6, vcc
; %bb.345:                              ;   in Loop: Header=BB8_334 Depth=2
	s_or_b64 exec, exec, s[78:79]
	v_lshlrev_b32_e32 v6, 16, v25
	s_waitcnt vmcnt(3)
	v_lshlrev_b32_e32 v7, 16, v26
	v_add_f32_e32 v6, v6, v7
	v_and_b32_e32 v7, 0x7f800000, v6
	v_cmp_ne_u32_e32 vcc, s38, v7
                                        ; implicit-def: $vgpr22
	s_and_saveexec_b64 s[78:79], vcc
	s_xor_b64 s[78:79], exec, s[78:79]
; %bb.346:                              ;   in Loop: Header=BB8_334 Depth=2
	v_bfe_u32 v7, v6, 16, 1
	v_add3_u32 v22, v6, v7, s39
                                        ; implicit-def: $vgpr6
; %bb.347:                              ;   in Loop: Header=BB8_334 Depth=2
	s_andn2_saveexec_b64 s[78:79], s[78:79]
; %bb.348:                              ;   in Loop: Header=BB8_334 Depth=2
	v_or_b32_e32 v7, 0x10000, v6
	v_cmp_eq_u32_sdwa vcc, v6, v60 src0_sel:WORD_0 src1_sel:DWORD
	v_cndmask_b32_e32 v22, v7, v6, vcc
; %bb.349:                              ;   in Loop: Header=BB8_334 Depth=2
	s_or_b64 exec, exec, s[78:79]
	v_and_b32_e32 v6, 0xffff0000, v25
	v_and_b32_e32 v7, 0xffff0000, v26
	v_add_f32_e32 v6, v6, v7
	v_and_b32_e32 v7, 0x7f800000, v6
	v_cmp_ne_u32_e32 vcc, s38, v7
                                        ; implicit-def: $vgpr25
	s_and_saveexec_b64 s[78:79], vcc
	s_xor_b64 s[78:79], exec, s[78:79]
; %bb.350:                              ;   in Loop: Header=BB8_334 Depth=2
	v_bfe_u32 v7, v6, 16, 1
	v_add3_u32 v25, v6, v7, s39
                                        ; implicit-def: $vgpr6
; %bb.351:                              ;   in Loop: Header=BB8_334 Depth=2
	s_andn2_saveexec_b64 s[78:79], s[78:79]
; %bb.352:                              ;   in Loop: Header=BB8_334 Depth=2
	v_or_b32_e32 v7, 0x10000, v6
	v_cmp_eq_u32_sdwa vcc, v6, v60 src0_sel:WORD_0 src1_sel:DWORD
	v_cndmask_b32_e32 v25, v7, v6, vcc
; %bb.353:                              ;   in Loop: Header=BB8_334 Depth=2
	s_or_b64 exec, exec, s[78:79]
	v_lshlrev_b32_e32 v6, 16, v23
	s_waitcnt vmcnt(2)
	v_lshlrev_b32_e32 v7, 16, v24
	v_add_f32_e32 v6, v6, v7
	v_and_b32_e32 v7, 0x7f800000, v6
	v_cmp_ne_u32_e32 vcc, s38, v7
                                        ; implicit-def: $vgpr26
	s_and_saveexec_b64 s[78:79], vcc
	s_xor_b64 s[78:79], exec, s[78:79]
; %bb.354:                              ;   in Loop: Header=BB8_334 Depth=2
	v_bfe_u32 v7, v6, 16, 1
	v_add3_u32 v26, v6, v7, s39
                                        ; implicit-def: $vgpr6
; %bb.355:                              ;   in Loop: Header=BB8_334 Depth=2
	s_andn2_saveexec_b64 s[78:79], s[78:79]
; %bb.356:                              ;   in Loop: Header=BB8_334 Depth=2
	v_or_b32_e32 v7, 0x10000, v6
	v_cmp_eq_u32_sdwa vcc, v6, v60 src0_sel:WORD_0 src1_sel:DWORD
	v_cndmask_b32_e32 v26, v7, v6, vcc
; %bb.357:                              ;   in Loop: Header=BB8_334 Depth=2
	s_or_b64 exec, exec, s[78:79]
	v_and_b32_e32 v6, 0xffff0000, v23
	v_and_b32_e32 v7, 0xffff0000, v24
	v_add_f32_e32 v6, v6, v7
	v_and_b32_e32 v7, 0x7f800000, v6
	v_cmp_ne_u32_e32 vcc, s38, v7
                                        ; implicit-def: $vgpr23
	s_and_saveexec_b64 s[78:79], vcc
	s_xor_b64 s[78:79], exec, s[78:79]
; %bb.358:                              ;   in Loop: Header=BB8_334 Depth=2
	v_bfe_u32 v7, v6, 16, 1
	v_add3_u32 v23, v6, v7, s39
                                        ; implicit-def: $vgpr6
; %bb.359:                              ;   in Loop: Header=BB8_334 Depth=2
	s_andn2_saveexec_b64 s[78:79], s[78:79]
; %bb.360:                              ;   in Loop: Header=BB8_334 Depth=2
	v_or_b32_e32 v7, 0x10000, v6
	v_cmp_eq_u32_sdwa vcc, v6, v60 src0_sel:WORD_0 src1_sel:DWORD
	v_cndmask_b32_e32 v23, v7, v6, vcc
; %bb.361:                              ;   in Loop: Header=BB8_334 Depth=2
	s_or_b64 exec, exec, s[78:79]
	s_waitcnt vmcnt(0)
	v_lshlrev_b32_e32 v6, 16, v20
	v_lshlrev_b32_e32 v7, 16, v5
	v_add_f32_e32 v7, v6, v7
	v_and_b32_e32 v6, 0x7f800000, v7
	v_cmp_ne_u32_e32 vcc, s38, v6
                                        ; implicit-def: $vgpr6
	s_and_saveexec_b64 s[78:79], vcc
	s_xor_b64 s[78:79], exec, s[78:79]
; %bb.362:                              ;   in Loop: Header=BB8_334 Depth=2
	v_bfe_u32 v6, v7, 16, 1
	v_add3_u32 v6, v7, v6, s39
                                        ; implicit-def: $vgpr7
; %bb.363:                              ;   in Loop: Header=BB8_334 Depth=2
	s_andn2_saveexec_b64 s[78:79], s[78:79]
; %bb.364:                              ;   in Loop: Header=BB8_334 Depth=2
	v_or_b32_e32 v6, 0x10000, v7
	v_cmp_eq_u32_sdwa vcc, v7, v60 src0_sel:WORD_0 src1_sel:DWORD
	v_cndmask_b32_e32 v6, v6, v7, vcc
; %bb.365:                              ;   in Loop: Header=BB8_334 Depth=2
	s_or_b64 exec, exec, s[78:79]
	v_and_b32_e32 v7, 0xffff0000, v20
	v_and_b32_e32 v5, 0xffff0000, v5
	v_add_f32_e32 v7, v7, v5
	v_and_b32_e32 v5, 0x7f800000, v7
	v_cmp_ne_u32_e32 vcc, s38, v5
                                        ; implicit-def: $vgpr5
	s_and_saveexec_b64 s[78:79], vcc
	s_xor_b64 s[78:79], exec, s[78:79]
; %bb.366:                              ;   in Loop: Header=BB8_334 Depth=2
	v_bfe_u32 v5, v7, 16, 1
	v_add3_u32 v5, v7, v5, s39
                                        ; implicit-def: $vgpr7
; %bb.367:                              ;   in Loop: Header=BB8_334 Depth=2
	s_andn2_saveexec_b64 s[78:79], s[78:79]
; %bb.368:                              ;   in Loop: Header=BB8_334 Depth=2
	v_or_b32_e32 v5, 0x10000, v7
	v_cmp_eq_u32_sdwa vcc, v7, v60 src0_sel:WORD_0 src1_sel:DWORD
	v_cndmask_b32_e32 v5, v5, v7, vcc
; %bb.369:                              ;   in Loop: Header=BB8_334 Depth=2
	s_or_b64 exec, exec, s[78:79]
	v_lshrrev_b32_e32 v4, 16, v4
	v_and_or_b32 v21, v21, s48, v4
	v_lshrrev_b32_e32 v4, 16, v26
	v_lshrrev_b32_e32 v7, 16, v22
	v_and_or_b32 v23, v23, s48, v4
	v_lshrrev_b32_e32 v4, 16, v6
	v_and_or_b32 v22, v25, s48, v7
	v_and_or_b32 v24, v5, s48, v4
	buffer_store_dword v22, off, s[0:3], s33 offset:100
	buffer_store_dword v21, off, s[0:3], s33 offset:96
	;; [unrolled: 1-line block ×4, first 2 shown]
	global_store_dwordx4 v[10:11], v[21:24], off glc slc
	v_add_co_u32_e32 v10, vcc, v62, v10
	v_addc_co_u32_e32 v11, vcc, v31, v11, vcc
.LBB8_370:                              ;   in Loop: Header=BB8_334 Depth=2
	s_or_b64 exec, exec, s[22:23]
	buffer_load_dword v4, off, s[0:3], s33 offset:172 ; 4-byte Folded Reload
	buffer_load_dword v5, off, s[0:3], s33 offset:180 ; 4-byte Folded Reload
	v_sub_u32_e32 v15, v15, v35
	v_cmp_lt_i32_e64 s[78:79], 15, v15
	s_waitcnt vmcnt(1)
	v_add_co_u32_e32 v16, vcc, v16, v4
	s_waitcnt vmcnt(0)
	v_addc_co_u32_e32 v17, vcc, v17, v5, vcc
	v_add_co_u32_e32 v18, vcc, v18, v4
	v_addc_co_u32_e32 v19, vcc, v19, v5, vcc
	s_and_saveexec_b64 s[88:89], s[78:79]
	s_cbranch_execz .LBB8_373
; %bb.371:                              ;   in Loop: Header=BB8_334 Depth=2
	s_lshr_b32 s94, s33, 6
	s_addk_i32 s94, 0x60
	s_mov_b64 s[92:93], 0
	s_mov_b64 s[90:91], -1
.LBB8_372:                              ;   Parent Loop BB8_49 Depth=1
                                        ;     Parent Loop BB8_334 Depth=2
                                        ; =>    This Inner Loop Header: Depth=3
	s_cmp_eq_u32 s92, 1
	s_cselect_b64 s[22:23], -1, 0
	v_cndmask_b32_e64 v9, v17, v19, s[22:23]
	v_cndmask_b32_e64 v8, v16, v18, s[22:23]
	global_load_dwordx4 v[4:7], v[8:9], off glc slc
	v_mov_b32_e32 v20, s94
	s_cmp_eq_u32 s92, 0
	s_mov_b64 s[92:93], 1
	s_mov_b32 s94, s34
	s_waitcnt vmcnt(0)
	buffer_store_dword v5, v20, s[0:3], 0 offen offset:4
	buffer_store_dword v4, v20, s[0:3], 0 offen
	buffer_store_dword v7, v20, s[0:3], 0 offen offset:12
	buffer_store_dword v6, v20, s[0:3], 0 offen offset:8
	v_add_co_u32_e32 v4, vcc, s36, v8
	v_addc_co_u32_e32 v5, vcc, 0, v9, vcc
	s_cselect_b64 vcc, -1, 0
	v_cndmask_b32_e32 v17, v17, v5, vcc
	v_cndmask_b32_e32 v16, v16, v4, vcc
	v_cndmask_b32_e64 v19, v19, v5, s[22:23]
	v_cndmask_b32_e64 v18, v18, v4, s[22:23]
	s_and_b64 vcc, exec, s[90:91]
	s_mov_b64 s[90:91], 0
	s_cbranch_vccnz .LBB8_372
.LBB8_373:                              ;   in Loop: Header=BB8_334 Depth=2
	s_or_b64 exec, exec, s[88:89]
	buffer_load_dword v6, off, s[0:3], s33 offset:64
	buffer_load_dword v25, off, s[0:3], s33 offset:68
	;; [unrolled: 1-line block ×8, first 2 shown]
	s_waitcnt vmcnt(7)
	v_lshlrev_b32_e32 v4, 16, v6
	s_waitcnt vmcnt(4)
	v_lshlrev_b32_e32 v8, 16, v7
	v_add_f32_e32 v8, v4, v8
	v_and_b32_e32 v4, 0x7f800000, v8
	v_cmp_ne_u32_e32 vcc, s38, v4
                                        ; implicit-def: $vgpr4
	s_and_saveexec_b64 s[22:23], vcc
	s_xor_b64 s[22:23], exec, s[22:23]
; %bb.374:                              ;   in Loop: Header=BB8_334 Depth=2
	v_bfe_u32 v4, v8, 16, 1
	v_add3_u32 v4, v8, v4, s39
                                        ; implicit-def: $vgpr8
; %bb.375:                              ;   in Loop: Header=BB8_334 Depth=2
	s_andn2_saveexec_b64 s[22:23], s[22:23]
; %bb.376:                              ;   in Loop: Header=BB8_334 Depth=2
	v_or_b32_e32 v4, 0x10000, v8
	v_cmp_eq_u32_sdwa vcc, v8, v60 src0_sel:WORD_0 src1_sel:DWORD
	v_cndmask_b32_e32 v4, v4, v8, vcc
; %bb.377:                              ;   in Loop: Header=BB8_334 Depth=2
	s_or_b64 exec, exec, s[22:23]
	v_and_b32_e32 v6, 0xffff0000, v6
	v_and_b32_e32 v7, 0xffff0000, v7
	v_add_f32_e32 v6, v6, v7
	v_and_b32_e32 v7, 0x7f800000, v6
	v_cmp_ne_u32_e32 vcc, s38, v7
                                        ; implicit-def: $vgpr21
	s_and_saveexec_b64 s[22:23], vcc
	s_xor_b64 s[22:23], exec, s[22:23]
; %bb.378:                              ;   in Loop: Header=BB8_334 Depth=2
	v_bfe_u32 v7, v6, 16, 1
	v_add3_u32 v21, v6, v7, s39
                                        ; implicit-def: $vgpr6
; %bb.379:                              ;   in Loop: Header=BB8_334 Depth=2
	s_andn2_saveexec_b64 s[22:23], s[22:23]
; %bb.380:                              ;   in Loop: Header=BB8_334 Depth=2
	v_or_b32_e32 v7, 0x10000, v6
	v_cmp_eq_u32_sdwa vcc, v6, v60 src0_sel:WORD_0 src1_sel:DWORD
	v_cndmask_b32_e32 v21, v7, v6, vcc
; %bb.381:                              ;   in Loop: Header=BB8_334 Depth=2
	s_or_b64 exec, exec, s[22:23]
	v_lshlrev_b32_e32 v6, 16, v25
	s_waitcnt vmcnt(3)
	v_lshlrev_b32_e32 v7, 16, v26
	v_add_f32_e32 v6, v6, v7
	v_and_b32_e32 v7, 0x7f800000, v6
	v_cmp_ne_u32_e32 vcc, s38, v7
                                        ; implicit-def: $vgpr22
	s_and_saveexec_b64 s[22:23], vcc
	s_xor_b64 s[22:23], exec, s[22:23]
; %bb.382:                              ;   in Loop: Header=BB8_334 Depth=2
	v_bfe_u32 v7, v6, 16, 1
	v_add3_u32 v22, v6, v7, s39
                                        ; implicit-def: $vgpr6
; %bb.383:                              ;   in Loop: Header=BB8_334 Depth=2
	s_andn2_saveexec_b64 s[22:23], s[22:23]
; %bb.384:                              ;   in Loop: Header=BB8_334 Depth=2
	v_or_b32_e32 v7, 0x10000, v6
	v_cmp_eq_u32_sdwa vcc, v6, v60 src0_sel:WORD_0 src1_sel:DWORD
	v_cndmask_b32_e32 v22, v7, v6, vcc
; %bb.385:                              ;   in Loop: Header=BB8_334 Depth=2
	s_or_b64 exec, exec, s[22:23]
	v_and_b32_e32 v6, 0xffff0000, v25
	v_and_b32_e32 v7, 0xffff0000, v26
	v_add_f32_e32 v6, v6, v7
	v_and_b32_e32 v7, 0x7f800000, v6
	v_cmp_ne_u32_e32 vcc, s38, v7
                                        ; implicit-def: $vgpr25
	s_and_saveexec_b64 s[22:23], vcc
	s_xor_b64 s[22:23], exec, s[22:23]
; %bb.386:                              ;   in Loop: Header=BB8_334 Depth=2
	v_bfe_u32 v7, v6, 16, 1
	v_add3_u32 v25, v6, v7, s39
                                        ; implicit-def: $vgpr6
; %bb.387:                              ;   in Loop: Header=BB8_334 Depth=2
	s_andn2_saveexec_b64 s[22:23], s[22:23]
; %bb.388:                              ;   in Loop: Header=BB8_334 Depth=2
	v_or_b32_e32 v7, 0x10000, v6
	v_cmp_eq_u32_sdwa vcc, v6, v60 src0_sel:WORD_0 src1_sel:DWORD
	v_cndmask_b32_e32 v25, v7, v6, vcc
; %bb.389:                              ;   in Loop: Header=BB8_334 Depth=2
	s_or_b64 exec, exec, s[22:23]
	v_lshlrev_b32_e32 v6, 16, v23
	s_waitcnt vmcnt(2)
	v_lshlrev_b32_e32 v7, 16, v24
	v_add_f32_e32 v6, v6, v7
	v_and_b32_e32 v7, 0x7f800000, v6
	v_cmp_ne_u32_e32 vcc, s38, v7
                                        ; implicit-def: $vgpr26
	s_and_saveexec_b64 s[22:23], vcc
	s_xor_b64 s[22:23], exec, s[22:23]
; %bb.390:                              ;   in Loop: Header=BB8_334 Depth=2
	v_bfe_u32 v7, v6, 16, 1
	v_add3_u32 v26, v6, v7, s39
                                        ; implicit-def: $vgpr6
; %bb.391:                              ;   in Loop: Header=BB8_334 Depth=2
	s_andn2_saveexec_b64 s[22:23], s[22:23]
; %bb.392:                              ;   in Loop: Header=BB8_334 Depth=2
	v_or_b32_e32 v7, 0x10000, v6
	v_cmp_eq_u32_sdwa vcc, v6, v60 src0_sel:WORD_0 src1_sel:DWORD
	v_cndmask_b32_e32 v26, v7, v6, vcc
; %bb.393:                              ;   in Loop: Header=BB8_334 Depth=2
	s_or_b64 exec, exec, s[22:23]
	v_and_b32_e32 v6, 0xffff0000, v23
	v_and_b32_e32 v7, 0xffff0000, v24
	v_add_f32_e32 v6, v6, v7
	v_and_b32_e32 v7, 0x7f800000, v6
	v_cmp_ne_u32_e32 vcc, s38, v7
                                        ; implicit-def: $vgpr23
	s_and_saveexec_b64 s[22:23], vcc
	s_xor_b64 s[22:23], exec, s[22:23]
; %bb.394:                              ;   in Loop: Header=BB8_334 Depth=2
	v_bfe_u32 v7, v6, 16, 1
	v_add3_u32 v23, v6, v7, s39
                                        ; implicit-def: $vgpr6
; %bb.395:                              ;   in Loop: Header=BB8_334 Depth=2
	s_andn2_saveexec_b64 s[22:23], s[22:23]
; %bb.396:                              ;   in Loop: Header=BB8_334 Depth=2
	v_or_b32_e32 v7, 0x10000, v6
	v_cmp_eq_u32_sdwa vcc, v6, v60 src0_sel:WORD_0 src1_sel:DWORD
	v_cndmask_b32_e32 v23, v7, v6, vcc
; %bb.397:                              ;   in Loop: Header=BB8_334 Depth=2
	s_or_b64 exec, exec, s[22:23]
	s_waitcnt vmcnt(0)
	v_lshlrev_b32_e32 v6, 16, v20
	v_lshlrev_b32_e32 v7, 16, v5
	v_add_f32_e32 v7, v6, v7
	v_and_b32_e32 v6, 0x7f800000, v7
	v_cmp_ne_u32_e32 vcc, s38, v6
                                        ; implicit-def: $vgpr6
	s_and_saveexec_b64 s[22:23], vcc
	s_xor_b64 s[22:23], exec, s[22:23]
; %bb.398:                              ;   in Loop: Header=BB8_334 Depth=2
	v_bfe_u32 v6, v7, 16, 1
	v_add3_u32 v6, v7, v6, s39
                                        ; implicit-def: $vgpr7
; %bb.399:                              ;   in Loop: Header=BB8_334 Depth=2
	s_andn2_saveexec_b64 s[22:23], s[22:23]
; %bb.400:                              ;   in Loop: Header=BB8_334 Depth=2
	v_or_b32_e32 v6, 0x10000, v7
	v_cmp_eq_u32_sdwa vcc, v7, v60 src0_sel:WORD_0 src1_sel:DWORD
	v_cndmask_b32_e32 v6, v6, v7, vcc
; %bb.401:                              ;   in Loop: Header=BB8_334 Depth=2
	s_or_b64 exec, exec, s[22:23]
	v_and_b32_e32 v7, 0xffff0000, v20
	v_and_b32_e32 v5, 0xffff0000, v5
	v_add_f32_e32 v7, v7, v5
	v_and_b32_e32 v5, 0x7f800000, v7
	v_cmp_ne_u32_e32 vcc, s38, v5
                                        ; implicit-def: $vgpr5
	s_and_saveexec_b64 s[22:23], vcc
	s_xor_b64 s[22:23], exec, s[22:23]
; %bb.402:                              ;   in Loop: Header=BB8_334 Depth=2
	v_bfe_u32 v5, v7, 16, 1
	v_add3_u32 v5, v7, v5, s39
                                        ; implicit-def: $vgpr7
; %bb.403:                              ;   in Loop: Header=BB8_334 Depth=2
	s_andn2_saveexec_b64 s[22:23], s[22:23]
; %bb.404:                              ;   in Loop: Header=BB8_334 Depth=2
	v_or_b32_e32 v5, 0x10000, v7
	v_cmp_eq_u32_sdwa vcc, v7, v60 src0_sel:WORD_0 src1_sel:DWORD
	v_cndmask_b32_e32 v5, v5, v7, vcc
; %bb.405:                              ;   in Loop: Header=BB8_334 Depth=2
	s_or_b64 exec, exec, s[22:23]
	v_lshrrev_b32_e32 v4, 16, v4
	v_and_or_b32 v21, v21, s48, v4
	v_lshrrev_b32_e32 v4, 16, v26
	v_lshrrev_b32_e32 v7, 16, v22
	v_and_or_b32 v23, v23, s48, v4
	v_lshrrev_b32_e32 v4, 16, v6
	v_and_or_b32 v22, v25, s48, v7
	v_and_or_b32 v24, v5, s48, v4
	buffer_store_dword v22, off, s[0:3], s33 offset:68
	buffer_store_dword v21, off, s[0:3], s33 offset:64
	;; [unrolled: 1-line block ×4, first 2 shown]
	global_store_dwordx4 v[10:11], v[21:24], off glc slc
	v_add_co_u32_e32 v10, vcc, 0x400, v10
	v_sub_u32_e32 v14, v14, v57
	v_addc_co_u32_e32 v11, vcc, 0, v11, vcc
	s_and_saveexec_b64 s[22:23], s[78:79]
	s_cbranch_execz .LBB8_333
; %bb.406:                              ;   in Loop: Header=BB8_334 Depth=2
	buffer_load_dword v4, off, s[0:3], s33 offset:172 ; 4-byte Folded Reload
	buffer_load_dword v5, off, s[0:3], s33 offset:180 ; 4-byte Folded Reload
	v_sub_u32_e32 v15, v15, v35
	v_sub_u32_e32 v14, v14, v57
	s_waitcnt vmcnt(1)
	v_add_co_u32_e32 v16, vcc, v16, v4
	s_waitcnt vmcnt(0)
	v_addc_co_u32_e32 v17, vcc, v17, v5, vcc
	v_add_co_u32_e32 v18, vcc, v18, v4
	v_addc_co_u32_e32 v19, vcc, v19, v5, vcc
	v_add_co_u32_e32 v10, vcc, v10, v4
	v_addc_co_u32_e32 v11, vcc, v11, v5, vcc
	s_branch .LBB8_333
.LBB8_407:                              ;   in Loop: Header=BB8_49 Depth=1
	s_or_b64 exec, exec, s[74:75]
	s_and_b64 s[74:75], s[76:77], exec
.LBB8_408:                              ;   in Loop: Header=BB8_49 Depth=1
	s_or_b64 exec, exec, s[72:73]
	s_and_saveexec_b64 s[22:23], s[74:75]
	s_cbranch_execz .LBB8_442
; %bb.409:                              ;   in Loop: Header=BB8_49 Depth=1
	buffer_load_dword v6, off, s[0:3], s33 offset:96
	buffer_load_dword v20, off, s[0:3], s33 offset:100
	;; [unrolled: 1-line block ×8, first 2 shown]
	s_waitcnt vmcnt(7)
	v_lshlrev_b32_e32 v4, 16, v6
	s_waitcnt vmcnt(4)
	v_lshlrev_b32_e32 v8, 16, v7
	v_add_f32_e32 v8, v4, v8
	v_and_b32_e32 v4, 0x7f800000, v8
	v_cmp_ne_u32_e32 vcc, s38, v4
                                        ; implicit-def: $vgpr4
	s_and_saveexec_b64 s[72:73], vcc
	s_xor_b64 s[72:73], exec, s[72:73]
; %bb.410:                              ;   in Loop: Header=BB8_49 Depth=1
	v_bfe_u32 v4, v8, 16, 1
	v_add3_u32 v4, v8, v4, s39
                                        ; implicit-def: $vgpr8
; %bb.411:                              ;   in Loop: Header=BB8_49 Depth=1
	s_andn2_saveexec_b64 s[72:73], s[72:73]
; %bb.412:                              ;   in Loop: Header=BB8_49 Depth=1
	v_or_b32_e32 v4, 0x10000, v8
	v_cmp_eq_u32_sdwa vcc, v8, v60 src0_sel:WORD_0 src1_sel:DWORD
	v_cndmask_b32_e32 v4, v4, v8, vcc
; %bb.413:                              ;   in Loop: Header=BB8_49 Depth=1
	s_or_b64 exec, exec, s[72:73]
	v_and_b32_e32 v6, 0xffff0000, v6
	v_and_b32_e32 v7, 0xffff0000, v7
	v_add_f32_e32 v6, v6, v7
	v_and_b32_e32 v7, 0x7f800000, v6
	v_cmp_ne_u32_e32 vcc, s38, v7
                                        ; implicit-def: $vgpr16
	s_and_saveexec_b64 s[72:73], vcc
	s_xor_b64 s[72:73], exec, s[72:73]
; %bb.414:                              ;   in Loop: Header=BB8_49 Depth=1
	v_bfe_u32 v7, v6, 16, 1
	v_add3_u32 v16, v6, v7, s39
                                        ; implicit-def: $vgpr6
; %bb.415:                              ;   in Loop: Header=BB8_49 Depth=1
	s_andn2_saveexec_b64 s[72:73], s[72:73]
; %bb.416:                              ;   in Loop: Header=BB8_49 Depth=1
	v_or_b32_e32 v7, 0x10000, v6
	v_cmp_eq_u32_sdwa vcc, v6, v60 src0_sel:WORD_0 src1_sel:DWORD
	v_cndmask_b32_e32 v16, v7, v6, vcc
; %bb.417:                              ;   in Loop: Header=BB8_49 Depth=1
	s_or_b64 exec, exec, s[72:73]
	v_lshlrev_b32_e32 v6, 16, v20
	s_waitcnt vmcnt(3)
	v_lshlrev_b32_e32 v7, 16, v21
	v_add_f32_e32 v6, v6, v7
	v_and_b32_e32 v7, 0x7f800000, v6
	v_cmp_ne_u32_e32 vcc, s38, v7
                                        ; implicit-def: $vgpr17
	s_and_saveexec_b64 s[72:73], vcc
	s_xor_b64 s[72:73], exec, s[72:73]
; %bb.418:                              ;   in Loop: Header=BB8_49 Depth=1
	v_bfe_u32 v7, v6, 16, 1
	v_add3_u32 v17, v6, v7, s39
                                        ; implicit-def: $vgpr6
; %bb.419:                              ;   in Loop: Header=BB8_49 Depth=1
	s_andn2_saveexec_b64 s[72:73], s[72:73]
; %bb.420:                              ;   in Loop: Header=BB8_49 Depth=1
	v_or_b32_e32 v7, 0x10000, v6
	v_cmp_eq_u32_sdwa vcc, v6, v60 src0_sel:WORD_0 src1_sel:DWORD
	v_cndmask_b32_e32 v17, v7, v6, vcc
; %bb.421:                              ;   in Loop: Header=BB8_49 Depth=1
	s_or_b64 exec, exec, s[72:73]
	v_and_b32_e32 v6, 0xffff0000, v20
	v_and_b32_e32 v7, 0xffff0000, v21
	v_add_f32_e32 v6, v6, v7
	v_and_b32_e32 v7, 0x7f800000, v6
	v_cmp_ne_u32_e32 vcc, s38, v7
                                        ; implicit-def: $vgpr20
	s_and_saveexec_b64 s[72:73], vcc
	s_xor_b64 s[72:73], exec, s[72:73]
; %bb.422:                              ;   in Loop: Header=BB8_49 Depth=1
	v_bfe_u32 v7, v6, 16, 1
	v_add3_u32 v20, v6, v7, s39
                                        ; implicit-def: $vgpr6
; %bb.423:                              ;   in Loop: Header=BB8_49 Depth=1
	s_andn2_saveexec_b64 s[72:73], s[72:73]
; %bb.424:                              ;   in Loop: Header=BB8_49 Depth=1
	v_or_b32_e32 v7, 0x10000, v6
	v_cmp_eq_u32_sdwa vcc, v6, v60 src0_sel:WORD_0 src1_sel:DWORD
	v_cndmask_b32_e32 v20, v7, v6, vcc
; %bb.425:                              ;   in Loop: Header=BB8_49 Depth=1
	s_or_b64 exec, exec, s[72:73]
	v_lshlrev_b32_e32 v6, 16, v18
	s_waitcnt vmcnt(2)
	v_lshlrev_b32_e32 v7, 16, v19
	v_add_f32_e32 v6, v6, v7
	v_and_b32_e32 v7, 0x7f800000, v6
	v_cmp_ne_u32_e32 vcc, s38, v7
                                        ; implicit-def: $vgpr21
	s_and_saveexec_b64 s[72:73], vcc
	s_xor_b64 s[72:73], exec, s[72:73]
; %bb.426:                              ;   in Loop: Header=BB8_49 Depth=1
	v_bfe_u32 v7, v6, 16, 1
	v_add3_u32 v21, v6, v7, s39
                                        ; implicit-def: $vgpr6
; %bb.427:                              ;   in Loop: Header=BB8_49 Depth=1
	s_andn2_saveexec_b64 s[72:73], s[72:73]
; %bb.428:                              ;   in Loop: Header=BB8_49 Depth=1
	v_or_b32_e32 v7, 0x10000, v6
	v_cmp_eq_u32_sdwa vcc, v6, v60 src0_sel:WORD_0 src1_sel:DWORD
	v_cndmask_b32_e32 v21, v7, v6, vcc
; %bb.429:                              ;   in Loop: Header=BB8_49 Depth=1
	s_or_b64 exec, exec, s[72:73]
	v_and_b32_e32 v6, 0xffff0000, v18
	v_and_b32_e32 v7, 0xffff0000, v19
	v_add_f32_e32 v6, v6, v7
	v_and_b32_e32 v7, 0x7f800000, v6
	v_cmp_ne_u32_e32 vcc, s38, v7
                                        ; implicit-def: $vgpr18
	s_and_saveexec_b64 s[72:73], vcc
	s_xor_b64 s[72:73], exec, s[72:73]
; %bb.430:                              ;   in Loop: Header=BB8_49 Depth=1
	v_bfe_u32 v7, v6, 16, 1
	v_add3_u32 v18, v6, v7, s39
                                        ; implicit-def: $vgpr6
; %bb.431:                              ;   in Loop: Header=BB8_49 Depth=1
	s_andn2_saveexec_b64 s[72:73], s[72:73]
; %bb.432:                              ;   in Loop: Header=BB8_49 Depth=1
	v_or_b32_e32 v7, 0x10000, v6
	v_cmp_eq_u32_sdwa vcc, v6, v60 src0_sel:WORD_0 src1_sel:DWORD
	v_cndmask_b32_e32 v18, v7, v6, vcc
; %bb.433:                              ;   in Loop: Header=BB8_49 Depth=1
	s_or_b64 exec, exec, s[72:73]
	s_waitcnt vmcnt(0)
	v_lshlrev_b32_e32 v6, 16, v15
	v_lshlrev_b32_e32 v7, 16, v5
	v_add_f32_e32 v7, v6, v7
	v_and_b32_e32 v6, 0x7f800000, v7
	v_cmp_ne_u32_e32 vcc, s38, v6
                                        ; implicit-def: $vgpr6
	s_and_saveexec_b64 s[72:73], vcc
	s_xor_b64 s[72:73], exec, s[72:73]
; %bb.434:                              ;   in Loop: Header=BB8_49 Depth=1
	v_bfe_u32 v6, v7, 16, 1
	v_add3_u32 v6, v7, v6, s39
                                        ; implicit-def: $vgpr7
; %bb.435:                              ;   in Loop: Header=BB8_49 Depth=1
	s_andn2_saveexec_b64 s[72:73], s[72:73]
; %bb.436:                              ;   in Loop: Header=BB8_49 Depth=1
	v_or_b32_e32 v6, 0x10000, v7
	v_cmp_eq_u32_sdwa vcc, v7, v60 src0_sel:WORD_0 src1_sel:DWORD
	v_cndmask_b32_e32 v6, v6, v7, vcc
; %bb.437:                              ;   in Loop: Header=BB8_49 Depth=1
	s_or_b64 exec, exec, s[72:73]
	v_and_b32_e32 v7, 0xffff0000, v15
	v_and_b32_e32 v5, 0xffff0000, v5
	v_add_f32_e32 v7, v7, v5
	v_and_b32_e32 v5, 0x7f800000, v7
	v_cmp_ne_u32_e32 vcc, s38, v5
                                        ; implicit-def: $vgpr5
	s_and_saveexec_b64 s[72:73], vcc
	s_xor_b64 s[72:73], exec, s[72:73]
; %bb.438:                              ;   in Loop: Header=BB8_49 Depth=1
	v_bfe_u32 v5, v7, 16, 1
	v_add3_u32 v5, v7, v5, s39
                                        ; implicit-def: $vgpr7
; %bb.439:                              ;   in Loop: Header=BB8_49 Depth=1
	s_andn2_saveexec_b64 s[72:73], s[72:73]
; %bb.440:                              ;   in Loop: Header=BB8_49 Depth=1
	v_or_b32_e32 v5, 0x10000, v7
	v_cmp_eq_u32_sdwa vcc, v7, v60 src0_sel:WORD_0 src1_sel:DWORD
	v_cndmask_b32_e32 v5, v5, v7, vcc
; %bb.441:                              ;   in Loop: Header=BB8_49 Depth=1
	s_or_b64 exec, exec, s[72:73]
	v_lshrrev_b32_e32 v4, 16, v4
	v_and_or_b32 v16, v16, s48, v4
	v_lshrrev_b32_e32 v4, 16, v21
	v_lshrrev_b32_e32 v7, 16, v17
	v_and_or_b32 v18, v18, s48, v4
	v_lshrrev_b32_e32 v4, 16, v6
	v_and_or_b32 v17, v20, s48, v7
	v_and_or_b32 v19, v5, s48, v4
	global_store_dwordx4 v[10:11], v[16:19], off glc slc
.LBB8_442:                              ;   in Loop: Header=BB8_49 Depth=1
	s_or_b64 exec, exec, s[22:23]
	buffer_load_dword v4, off, s[0:3], s33 offset:236 ; 4-byte Folded Reload
	s_mov_b64 s[72:73], s[60:61]
                                        ; implicit-def: $vgpr15
                                        ; implicit-def: $vgpr16
	s_waitcnt vmcnt(0)
	v_and_b32_e32 v5, 14, v4
	v_cndmask_b32_e64 v4, v13, v5, s[20:21]
	v_cmp_ne_u32_e32 vcc, 0, v4
	buffer_store_dword v4, off, s[0:3], s33 offset:236 ; 4-byte Folded Spill
                                        ; implicit-def: $vgpr4
	s_and_saveexec_b64 s[22:23], vcc
	s_cbranch_execz .LBB8_444
; %bb.443:                              ;   in Loop: Header=BB8_49 Depth=1
	v_sub_u32_e32 v4, v13, v5
	v_cndmask_b32_e64 v4, 0, v4, s[20:21]
	v_cmp_lt_i32_e32 vcc, 0, v14
	v_add3_u32 v15, v12, v0, v4
	v_cndmask_b32_e32 v0, 0, v57, vcc
	v_sub_u32_e32 v0, v0, v14
	v_lshl_add_u32 v0, v0, 6, v1
	v_ashrrev_i32_e32 v1, 31, v0
	v_lshrrev_b32_e32 v1, 26, v1
	v_add_u32_e32 v1, v0, v1
	v_ashrrev_i32_e32 v4, 6, v1
	v_and_b32_e32 v1, 0xffffffc0, v1
	v_sub_u32_e32 v16, v0, v1
	s_or_b64 s[72:73], s[60:61], exec
.LBB8_444:                              ;   in Loop: Header=BB8_49 Depth=1
	s_or_b64 exec, exec, s[22:23]
	s_andn2_b64 s[20:21], s[60:61], exec
	s_and_b64 s[22:23], s[72:73], exec
	s_or_b64 s[60:61], s[20:21], s[22:23]
.LBB8_445:                              ;   in Loop: Header=BB8_49 Depth=1
	s_or_b64 exec, exec, s[62:63]
	buffer_load_dword v38, off, s[0:3], s33 offset:192 ; 4-byte Folded Reload
	buffer_load_dword v39, off, s[0:3], s33 offset:196 ; 4-byte Folded Reload
	;; [unrolled: 1-line block ×4, first 2 shown]
	v_mov_b32_e32 v26, 1
	v_mov_b32_e32 v53, 0xc8
	;; [unrolled: 1-line block ×3, first 2 shown]
	s_and_saveexec_b64 s[22:23], s[60:61]
	s_cbranch_execz .LBB8_577
.LBB8_446:                              ;   in Loop: Header=BB8_49 Depth=1
	v_lshlrev_b32_e32 v0, 10, v4
	s_waitcnt vmcnt(0)
	v_lshlrev_b32_e32 v1, 1, v16
	v_add3_u32 v8, v15, v1, v0
	buffer_load_dword v1, off, s[0:3], s33 offset:236 ; 4-byte Folded Reload
	v_ashrrev_i32_e32 v9, 31, v8
	v_mov_b32_e32 v6, 0
	s_mov_b64 s[60:61], 0
	v_mov_b32_e32 v37, 0
	v_mov_b32_e32 v34, 0
	;; [unrolled: 1-line block ×12, first 2 shown]
	s_waitcnt vmcnt(0)
	v_ashrrev_i32_e32 v0, 31, v1
	v_lshrrev_b32_e32 v0, 22, v0
	v_add_u32_e32 v0, v1, v0
	v_ashrrev_i32_e32 v14, 10, v0
	buffer_load_dword v0, off, s[0:3], s33 offset:252 ; 4-byte Folded Reload
	buffer_load_dword v1, off, s[0:3], s33 offset:256 ; 4-byte Folded Reload
	v_sub_u32_e32 v17, v14, v4
	v_mov_b32_e32 v4, 0
	s_waitcnt vmcnt(1)
	v_add_co_u32_e32 v10, vcc, v0, v8
	s_waitcnt vmcnt(0)
	v_addc_co_u32_e32 v11, vcc, v1, v9, vcc
	v_cmp_lt_i32_e32 vcc, 0, v17
	v_mov_b32_e32 v0, 0
	v_mov_b32_e32 v1, 0
	s_and_saveexec_b64 s[20:21], vcc
	s_cbranch_execz .LBB8_518
; %bb.447:                              ;   in Loop: Header=BB8_49 Depth=1
	buffer_store_dword v25, off, s[0:3], s33 offset:260 ; 4-byte Folded Spill
	s_trap 2
	ds_read_b64 v[4:5], v0
	buffer_load_dword v0, off, s[0:3], s33 offset:244 ; 4-byte Folded Reload
	buffer_load_dword v1, off, s[0:3], s33 offset:248 ; 4-byte Folded Reload
	v_mov_b32_e32 v43, v24
	v_mov_b32_e32 v42, v27
	s_mov_b64 s[72:73], 0
	s_mov_b64 s[62:63], 0
                                        ; implicit-def: $sgpr60_sgpr61
                                        ; implicit-def: $vgpr53
                                        ; implicit-def: $vgpr50
                                        ; implicit-def: $vgpr38
                                        ; implicit-def: $vgpr35
                                        ; implicit-def: $vgpr32
                                        ; implicit-def: $vgpr28
                                        ; implicit-def: $vgpr27
                                        ; implicit-def: $vgpr26
                                        ; implicit-def: $vgpr18
                                        ; implicit-def: $vgpr19
                                        ; implicit-def: $vgpr20
                                        ; implicit-def: $vgpr21
                                        ; implicit-def: $vgpr22
                                        ; implicit-def: $vgpr23
                                        ; implicit-def: $vgpr24
                                        ; implicit-def: $vgpr25
	s_waitcnt vmcnt(1)
	v_add_co_u32_e32 v0, vcc, v8, v0
	s_waitcnt vmcnt(0)
	v_addc_co_u32_e32 v1, vcc, v9, v1, vcc
	s_waitcnt lgkmcnt(0)
	v_add_co_u32_e32 v12, vcc, v4, v8
	v_addc_co_u32_e32 v13, vcc, v5, v9, vcc
	s_branch .LBB8_449
.LBB8_448:                              ;   in Loop: Header=BB8_449 Depth=2
	s_or_b64 exec, exec, s[74:75]
	flat_store_short_d16_hi v[10:11], v4 glc slc
	flat_store_short_d16_hi v[10:11], v5 offset:128 glc slc
	flat_store_short_d16_hi v[10:11], v55 offset:256 glc slc
	;; [unrolled: 1-line block ×7, first 2 shown]
	buffer_load_dword v6, off, s[0:3], s33 offset:172 ; 4-byte Folded Reload
	v_mov_b32_e32 v9, 0x400
	buffer_load_dword v7, off, s[0:3], s33 offset:180 ; 4-byte Folded Reload
	v_cndmask_b32_e64 v9, v9, v62, s[72:73]
	v_cndmask_b32_e64 v8, 0, v31, s[72:73]
	s_waitcnt vmcnt(0)
	v_add_co_u32_e32 v4, vcc, v0, v6
	v_addc_co_u32_e32 v5, vcc, v1, v7, vcc
	v_add_co_u32_e32 v6, vcc, v12, v6
	v_addc_co_u32_e32 v7, vcc, v13, v7, vcc
	v_add_co_u32_e32 v10, vcc, v10, v9
	v_cndmask_b32_e64 v0, v0, v4, s[72:73]
	v_cndmask_b32_e64 v4, 0, v57, s[72:73]
	v_addc_co_u32_e32 v11, vcc, v11, v8, vcc
	v_sub_u32_e32 v17, v17, v4
	v_cmp_gt_i32_e32 vcc, 1, v17
	s_or_b64 s[62:63], vcc, s[62:63]
	s_andn2_b64 s[60:61], s[60:61], exec
	s_and_b64 s[74:75], s[72:73], exec
	v_cndmask_b32_e64 v1, v1, v5, s[72:73]
	v_cndmask_b32_e64 v13, v13, v7, s[72:73]
	;; [unrolled: 1-line block ×3, first 2 shown]
	s_or_b64 s[60:61], s[60:61], s[74:75]
	s_andn2_b64 exec, exec, s[62:63]
	s_cbranch_execz .LBB8_517
.LBB8_449:                              ;   Parent Loop BB8_49 Depth=1
                                        ; =>  This Inner Loop Header: Depth=2
	flat_load_ushort v59, v[0:1] glc slc
	flat_load_ushort v56, v[0:1] offset:128 glc slc
	flat_load_ushort v46, v[0:1] offset:256 glc slc
	;; [unrolled: 1-line block ×7, first 2 shown]
	flat_load_ushort v61, v[12:13] glc slc
	flat_load_ushort v58, v[12:13] offset:128 glc slc
	flat_load_ushort v47, v[12:13] offset:256 glc slc
	;; [unrolled: 1-line block ×7, first 2 shown]
	s_and_saveexec_b64 s[74:75], s[72:73]
	s_cbranch_execz .LBB8_483
; %bb.450:                              ;   in Loop: Header=BB8_449 Depth=2
	v_lshlrev_b32_e32 v4, 16, v53
	v_lshlrev_b32_e32 v5, 16, v18
	v_add_f32_e32 v5, v4, v5
	v_and_b32_e32 v4, 0x7f800000, v5
	v_cmp_ne_u32_e32 vcc, s38, v4
                                        ; implicit-def: $vgpr4
	s_and_saveexec_b64 s[72:73], vcc
	s_xor_b64 s[72:73], exec, s[72:73]
; %bb.451:                              ;   in Loop: Header=BB8_449 Depth=2
	v_bfe_u32 v4, v5, 16, 1
	v_add3_u32 v4, v5, v4, s39
                                        ; implicit-def: $vgpr5
; %bb.452:                              ;   in Loop: Header=BB8_449 Depth=2
	s_andn2_saveexec_b64 s[72:73], s[72:73]
; %bb.453:                              ;   in Loop: Header=BB8_449 Depth=2
	v_or_b32_e32 v4, 0x10000, v5
	v_cmp_eq_u32_sdwa vcc, v5, v60 src0_sel:WORD_0 src1_sel:DWORD
	v_cndmask_b32_e32 v4, v4, v5, vcc
; %bb.454:                              ;   in Loop: Header=BB8_449 Depth=2
	s_or_b64 exec, exec, s[72:73]
	v_lshlrev_b32_e32 v5, 16, v50
	v_lshlrev_b32_e32 v6, 16, v19
	v_add_f32_e32 v6, v5, v6
	v_and_b32_e32 v5, 0x7f800000, v6
	v_cmp_ne_u32_e32 vcc, s38, v5
                                        ; implicit-def: $vgpr5
	s_and_saveexec_b64 s[72:73], vcc
	s_xor_b64 s[72:73], exec, s[72:73]
; %bb.455:                              ;   in Loop: Header=BB8_449 Depth=2
	v_bfe_u32 v5, v6, 16, 1
	v_add3_u32 v5, v6, v5, s39
                                        ; implicit-def: $vgpr6
; %bb.456:                              ;   in Loop: Header=BB8_449 Depth=2
	s_andn2_saveexec_b64 s[72:73], s[72:73]
; %bb.457:                              ;   in Loop: Header=BB8_449 Depth=2
	v_or_b32_e32 v5, 0x10000, v6
	v_cmp_eq_u32_sdwa vcc, v6, v60 src0_sel:WORD_0 src1_sel:DWORD
	v_cndmask_b32_e32 v5, v5, v6, vcc
; %bb.458:                              ;   in Loop: Header=BB8_449 Depth=2
	s_or_b64 exec, exec, s[72:73]
	v_lshlrev_b32_e32 v6, 16, v38
	v_lshlrev_b32_e32 v7, 16, v20
	v_add_f32_e32 v6, v6, v7
	v_and_b32_e32 v7, 0x7f800000, v6
	v_cmp_ne_u32_e32 vcc, s38, v7
                                        ; implicit-def: $vgpr38
	s_and_saveexec_b64 s[72:73], vcc
	s_xor_b64 s[72:73], exec, s[72:73]
; %bb.459:                              ;   in Loop: Header=BB8_449 Depth=2
	v_bfe_u32 v7, v6, 16, 1
	v_add3_u32 v38, v6, v7, s39
                                        ; implicit-def: $vgpr6
; %bb.460:                              ;   in Loop: Header=BB8_449 Depth=2
	s_andn2_saveexec_b64 s[72:73], s[72:73]
; %bb.461:                              ;   in Loop: Header=BB8_449 Depth=2
	v_or_b32_e32 v7, 0x10000, v6
	v_cmp_eq_u32_sdwa vcc, v6, v60 src0_sel:WORD_0 src1_sel:DWORD
	v_cndmask_b32_e32 v38, v7, v6, vcc
; %bb.462:                              ;   in Loop: Header=BB8_449 Depth=2
	s_or_b64 exec, exec, s[72:73]
	v_lshlrev_b32_e32 v6, 16, v35
	v_lshlrev_b32_e32 v7, 16, v21
	v_add_f32_e32 v6, v6, v7
	v_and_b32_e32 v7, 0x7f800000, v6
	v_cmp_ne_u32_e32 vcc, s38, v7
                                        ; implicit-def: $vgpr35
	s_and_saveexec_b64 s[72:73], vcc
	s_xor_b64 s[72:73], exec, s[72:73]
; %bb.463:                              ;   in Loop: Header=BB8_449 Depth=2
	v_bfe_u32 v7, v6, 16, 1
	v_add3_u32 v35, v6, v7, s39
                                        ; implicit-def: $vgpr6
; %bb.464:                              ;   in Loop: Header=BB8_449 Depth=2
	s_andn2_saveexec_b64 s[72:73], s[72:73]
; %bb.465:                              ;   in Loop: Header=BB8_449 Depth=2
	v_or_b32_e32 v7, 0x10000, v6
	v_cmp_eq_u32_sdwa vcc, v6, v60 src0_sel:WORD_0 src1_sel:DWORD
	v_cndmask_b32_e32 v35, v7, v6, vcc
; %bb.466:                              ;   in Loop: Header=BB8_449 Depth=2
	s_or_b64 exec, exec, s[72:73]
	v_lshlrev_b32_e32 v6, 16, v32
	v_lshlrev_b32_e32 v7, 16, v22
	v_add_f32_e32 v6, v6, v7
	v_and_b32_e32 v7, 0x7f800000, v6
	v_cmp_ne_u32_e32 vcc, s38, v7
                                        ; implicit-def: $vgpr32
	s_and_saveexec_b64 s[72:73], vcc
	s_xor_b64 s[72:73], exec, s[72:73]
; %bb.467:                              ;   in Loop: Header=BB8_449 Depth=2
	v_bfe_u32 v7, v6, 16, 1
	v_add3_u32 v32, v6, v7, s39
                                        ; implicit-def: $vgpr6
; %bb.468:                              ;   in Loop: Header=BB8_449 Depth=2
	s_andn2_saveexec_b64 s[72:73], s[72:73]
; %bb.469:                              ;   in Loop: Header=BB8_449 Depth=2
	v_or_b32_e32 v7, 0x10000, v6
	v_cmp_eq_u32_sdwa vcc, v6, v60 src0_sel:WORD_0 src1_sel:DWORD
	v_cndmask_b32_e32 v32, v7, v6, vcc
; %bb.470:                              ;   in Loop: Header=BB8_449 Depth=2
	s_or_b64 exec, exec, s[72:73]
	v_lshlrev_b32_e32 v6, 16, v28
	v_lshlrev_b32_e32 v7, 16, v23
	v_add_f32_e32 v6, v6, v7
	v_and_b32_e32 v7, 0x7f800000, v6
	v_cmp_ne_u32_e32 vcc, s38, v7
                                        ; implicit-def: $vgpr28
	s_and_saveexec_b64 s[72:73], vcc
	s_xor_b64 s[72:73], exec, s[72:73]
; %bb.471:                              ;   in Loop: Header=BB8_449 Depth=2
	v_bfe_u32 v7, v6, 16, 1
	v_add3_u32 v28, v6, v7, s39
                                        ; implicit-def: $vgpr6
; %bb.472:                              ;   in Loop: Header=BB8_449 Depth=2
	s_andn2_saveexec_b64 s[72:73], s[72:73]
; %bb.473:                              ;   in Loop: Header=BB8_449 Depth=2
	v_or_b32_e32 v7, 0x10000, v6
	v_cmp_eq_u32_sdwa vcc, v6, v60 src0_sel:WORD_0 src1_sel:DWORD
	v_cndmask_b32_e32 v28, v7, v6, vcc
; %bb.474:                              ;   in Loop: Header=BB8_449 Depth=2
	s_or_b64 exec, exec, s[72:73]
	v_lshlrev_b32_e32 v6, 16, v27
	v_lshlrev_b32_e32 v7, 16, v24
	v_add_f32_e32 v7, v6, v7
	v_and_b32_e32 v6, 0x7f800000, v7
	v_cmp_ne_u32_e32 vcc, s38, v6
                                        ; implicit-def: $vgpr6
	s_and_saveexec_b64 s[72:73], vcc
	s_xor_b64 s[72:73], exec, s[72:73]
; %bb.475:                              ;   in Loop: Header=BB8_449 Depth=2
	v_bfe_u32 v6, v7, 16, 1
	v_add3_u32 v6, v7, v6, s39
                                        ; implicit-def: $vgpr7
; %bb.476:                              ;   in Loop: Header=BB8_449 Depth=2
	s_andn2_saveexec_b64 s[72:73], s[72:73]
; %bb.477:                              ;   in Loop: Header=BB8_449 Depth=2
	v_or_b32_e32 v6, 0x10000, v7
	v_cmp_eq_u32_sdwa vcc, v7, v60 src0_sel:WORD_0 src1_sel:DWORD
	v_cndmask_b32_e32 v6, v6, v7, vcc
; %bb.478:                              ;   in Loop: Header=BB8_449 Depth=2
	s_or_b64 exec, exec, s[72:73]
	v_lshlrev_b32_e32 v7, 16, v26
	v_lshlrev_b32_e32 v8, 16, v25
	v_add_f32_e32 v8, v7, v8
	v_and_b32_e32 v7, 0x7f800000, v8
	v_cmp_ne_u32_e32 vcc, s38, v7
                                        ; implicit-def: $vgpr7
	s_and_saveexec_b64 s[72:73], vcc
	s_xor_b64 s[72:73], exec, s[72:73]
; %bb.479:                              ;   in Loop: Header=BB8_449 Depth=2
	v_bfe_u32 v7, v8, 16, 1
	v_add3_u32 v7, v8, v7, s39
                                        ; implicit-def: $vgpr8
; %bb.480:                              ;   in Loop: Header=BB8_449 Depth=2
	s_andn2_saveexec_b64 s[72:73], s[72:73]
; %bb.481:                              ;   in Loop: Header=BB8_449 Depth=2
	v_or_b32_e32 v7, 0x10000, v8
	v_cmp_eq_u32_sdwa vcc, v8, v60 src0_sel:WORD_0 src1_sel:DWORD
	v_cndmask_b32_e32 v7, v7, v8, vcc
; %bb.482:                              ;   in Loop: Header=BB8_449 Depth=2
	s_or_b64 exec, exec, s[72:73]
	v_lshrrev_b32_e32 v53, 16, v4
	v_lshrrev_b32_e32 v27, 16, v6
	v_lshrrev_b32_e32 v28, 16, v28
	v_lshrrev_b32_e32 v32, 16, v32
	v_lshrrev_b32_e32 v35, 16, v35
	v_lshrrev_b32_e32 v38, 16, v38
	v_lshrrev_b32_e32 v50, 16, v5
	v_lshrrev_b32_e32 v26, 16, v7
	flat_store_short v[10:11], v53 glc slc
	flat_store_short v[10:11], v50 offset:128 glc slc
	flat_store_short v[10:11], v38 offset:256 glc slc
	;; [unrolled: 1-line block ×7, first 2 shown]
	v_add_co_u32_e32 v10, vcc, v10, v62
	v_addc_co_u32_e32 v11, vcc, v11, v31, vcc
.LBB8_483:                              ;   in Loop: Header=BB8_449 Depth=2
	s_or_b64 exec, exec, s[74:75]
	v_add_co_u32_e32 v0, vcc, v0, v62
	v_addc_co_u32_e32 v1, vcc, v1, v31, vcc
	v_add_co_u32_e32 v12, vcc, v12, v62
	v_sub_u32_e32 v17, v17, v57
	v_addc_co_u32_e32 v13, vcc, v13, v31, vcc
	v_cmp_lt_i32_e64 s[72:73], 0, v17
	s_and_saveexec_b64 s[74:75], s[72:73]
	s_cbranch_execz .LBB8_485
; %bb.484:                              ;   in Loop: Header=BB8_449 Depth=2
	flat_load_ushort v53, v[0:1] glc slc
	flat_load_ushort v50, v[0:1] offset:128 glc slc
	flat_load_ushort v38, v[0:1] offset:256 glc slc
	;; [unrolled: 1-line block ×7, first 2 shown]
	flat_load_ushort v18, v[12:13] glc slc
	flat_load_ushort v19, v[12:13] offset:128 glc slc
	flat_load_ushort v20, v[12:13] offset:256 glc slc
	flat_load_ushort v21, v[12:13] offset:384 glc slc
	flat_load_ushort v22, v[12:13] offset:512 glc slc
	flat_load_ushort v23, v[12:13] offset:640 glc slc
	flat_load_ushort v24, v[12:13] offset:768 glc slc
	flat_load_ushort v25, v[12:13] offset:896 glc slc
	v_add_co_u32_e32 v0, vcc, 0x400, v0
	v_addc_co_u32_e32 v1, vcc, 0, v1, vcc
	v_add_co_u32_e32 v12, vcc, 0x400, v12
	v_addc_co_u32_e32 v13, vcc, 0, v13, vcc
.LBB8_485:                              ;   in Loop: Header=BB8_449 Depth=2
	s_or_b64 exec, exec, s[74:75]
	s_waitcnt vmcnt(0) lgkmcnt(0)
	v_lshlrev_b32_e32 v4, 16, v59
	v_lshlrev_b32_e32 v5, 16, v61
	v_add_f32_e32 v5, v4, v5
	v_and_b32_e32 v4, 0x7f800000, v5
	v_cmp_ne_u32_e32 vcc, s38, v4
                                        ; implicit-def: $vgpr4
	s_and_saveexec_b64 s[74:75], vcc
	s_xor_b64 s[74:75], exec, s[74:75]
; %bb.486:                              ;   in Loop: Header=BB8_449 Depth=2
	v_bfe_u32 v4, v5, 16, 1
	v_add3_u32 v4, v5, v4, s39
                                        ; implicit-def: $vgpr5
; %bb.487:                              ;   in Loop: Header=BB8_449 Depth=2
	s_andn2_saveexec_b64 s[74:75], s[74:75]
; %bb.488:                              ;   in Loop: Header=BB8_449 Depth=2
	v_or_b32_e32 v4, 0x10000, v5
	v_cmp_eq_u32_sdwa vcc, v5, v60 src0_sel:WORD_0 src1_sel:DWORD
	v_cndmask_b32_e32 v4, v4, v5, vcc
; %bb.489:                              ;   in Loop: Header=BB8_449 Depth=2
	s_or_b64 exec, exec, s[74:75]
	v_lshlrev_b32_e32 v5, 16, v56
	v_lshlrev_b32_e32 v6, 16, v58
	v_add_f32_e32 v6, v5, v6
	v_and_b32_e32 v5, 0x7f800000, v6
	v_cmp_ne_u32_e32 vcc, s38, v5
                                        ; implicit-def: $vgpr5
	s_and_saveexec_b64 s[74:75], vcc
	s_xor_b64 s[74:75], exec, s[74:75]
; %bb.490:                              ;   in Loop: Header=BB8_449 Depth=2
	v_bfe_u32 v5, v6, 16, 1
	v_add3_u32 v5, v6, v5, s39
                                        ; implicit-def: $vgpr6
; %bb.491:                              ;   in Loop: Header=BB8_449 Depth=2
	s_andn2_saveexec_b64 s[74:75], s[74:75]
; %bb.492:                              ;   in Loop: Header=BB8_449 Depth=2
	v_or_b32_e32 v5, 0x10000, v6
	v_cmp_eq_u32_sdwa vcc, v6, v60 src0_sel:WORD_0 src1_sel:DWORD
	v_cndmask_b32_e32 v5, v5, v6, vcc
; %bb.493:                              ;   in Loop: Header=BB8_449 Depth=2
	s_or_b64 exec, exec, s[74:75]
	v_lshlrev_b32_e32 v6, 16, v46
	v_lshlrev_b32_e32 v7, 16, v47
	v_add_f32_e32 v6, v6, v7
	v_and_b32_e32 v7, 0x7f800000, v6
	v_cmp_ne_u32_e32 vcc, s38, v7
                                        ; implicit-def: $vgpr55
	s_and_saveexec_b64 s[74:75], vcc
	s_xor_b64 s[74:75], exec, s[74:75]
; %bb.494:                              ;   in Loop: Header=BB8_449 Depth=2
	v_bfe_u32 v7, v6, 16, 1
	v_add3_u32 v55, v6, v7, s39
                                        ; implicit-def: $vgpr6
; %bb.495:                              ;   in Loop: Header=BB8_449 Depth=2
	s_andn2_saveexec_b64 s[74:75], s[74:75]
; %bb.496:                              ;   in Loop: Header=BB8_449 Depth=2
	v_or_b32_e32 v7, 0x10000, v6
	v_cmp_eq_u32_sdwa vcc, v6, v60 src0_sel:WORD_0 src1_sel:DWORD
	v_cndmask_b32_e32 v55, v7, v6, vcc
; %bb.497:                              ;   in Loop: Header=BB8_449 Depth=2
	s_or_b64 exec, exec, s[74:75]
	v_lshlrev_b32_e32 v6, 16, v51
	v_lshlrev_b32_e32 v7, 16, v52
	v_add_f32_e32 v6, v6, v7
	v_and_b32_e32 v7, 0x7f800000, v6
	v_cmp_ne_u32_e32 vcc, s38, v7
                                        ; implicit-def: $vgpr51
	s_and_saveexec_b64 s[74:75], vcc
	s_xor_b64 s[74:75], exec, s[74:75]
; %bb.498:                              ;   in Loop: Header=BB8_449 Depth=2
	v_bfe_u32 v7, v6, 16, 1
	v_add3_u32 v51, v6, v7, s39
                                        ; implicit-def: $vgpr6
; %bb.499:                              ;   in Loop: Header=BB8_449 Depth=2
	s_andn2_saveexec_b64 s[74:75], s[74:75]
; %bb.500:                              ;   in Loop: Header=BB8_449 Depth=2
	v_or_b32_e32 v7, 0x10000, v6
	v_cmp_eq_u32_sdwa vcc, v6, v60 src0_sel:WORD_0 src1_sel:DWORD
	v_cndmask_b32_e32 v51, v7, v6, vcc
; %bb.501:                              ;   in Loop: Header=BB8_449 Depth=2
	s_or_b64 exec, exec, s[74:75]
	v_lshlrev_b32_e32 v6, 16, v48
	v_lshlrev_b32_e32 v7, 16, v49
	v_add_f32_e32 v6, v6, v7
	v_and_b32_e32 v7, 0x7f800000, v6
	v_cmp_ne_u32_e32 vcc, s38, v7
                                        ; implicit-def: $vgpr48
	s_and_saveexec_b64 s[74:75], vcc
	s_xor_b64 s[74:75], exec, s[74:75]
; %bb.502:                              ;   in Loop: Header=BB8_449 Depth=2
	v_bfe_u32 v7, v6, 16, 1
	v_add3_u32 v48, v6, v7, s39
                                        ; implicit-def: $vgpr6
; %bb.503:                              ;   in Loop: Header=BB8_449 Depth=2
	s_andn2_saveexec_b64 s[74:75], s[74:75]
; %bb.504:                              ;   in Loop: Header=BB8_449 Depth=2
	v_or_b32_e32 v7, 0x10000, v6
	v_cmp_eq_u32_sdwa vcc, v6, v60 src0_sel:WORD_0 src1_sel:DWORD
	v_cndmask_b32_e32 v48, v7, v6, vcc
; %bb.505:                              ;   in Loop: Header=BB8_449 Depth=2
	s_or_b64 exec, exec, s[74:75]
	v_lshlrev_b32_e32 v6, 16, v37
	v_lshlrev_b32_e32 v7, 16, v39
	v_add_f32_e32 v6, v6, v7
	v_and_b32_e32 v7, 0x7f800000, v6
	v_cmp_ne_u32_e32 vcc, s38, v7
                                        ; implicit-def: $vgpr37
	s_and_saveexec_b64 s[74:75], vcc
	s_xor_b64 s[74:75], exec, s[74:75]
; %bb.506:                              ;   in Loop: Header=BB8_449 Depth=2
	v_bfe_u32 v7, v6, 16, 1
	v_add3_u32 v37, v6, v7, s39
                                        ; implicit-def: $vgpr6
; %bb.507:                              ;   in Loop: Header=BB8_449 Depth=2
	s_andn2_saveexec_b64 s[74:75], s[74:75]
; %bb.508:                              ;   in Loop: Header=BB8_449 Depth=2
	v_or_b32_e32 v7, 0x10000, v6
	v_cmp_eq_u32_sdwa vcc, v6, v60 src0_sel:WORD_0 src1_sel:DWORD
	v_cndmask_b32_e32 v37, v7, v6, vcc
; %bb.509:                              ;   in Loop: Header=BB8_449 Depth=2
	s_or_b64 exec, exec, s[74:75]
	v_lshlrev_b32_e32 v6, 16, v34
	v_lshlrev_b32_e32 v7, 16, v36
	v_add_f32_e32 v7, v6, v7
	v_and_b32_e32 v6, 0x7f800000, v7
	v_cmp_ne_u32_e32 vcc, s38, v6
                                        ; implicit-def: $vgpr6
	s_and_saveexec_b64 s[74:75], vcc
	s_xor_b64 s[74:75], exec, s[74:75]
; %bb.510:                              ;   in Loop: Header=BB8_449 Depth=2
	v_bfe_u32 v6, v7, 16, 1
	v_add3_u32 v6, v7, v6, s39
                                        ; implicit-def: $vgpr7
; %bb.511:                              ;   in Loop: Header=BB8_449 Depth=2
	s_andn2_saveexec_b64 s[74:75], s[74:75]
; %bb.512:                              ;   in Loop: Header=BB8_449 Depth=2
	v_or_b32_e32 v6, 0x10000, v7
	v_cmp_eq_u32_sdwa vcc, v7, v60 src0_sel:WORD_0 src1_sel:DWORD
	v_cndmask_b32_e32 v6, v6, v7, vcc
; %bb.513:                              ;   in Loop: Header=BB8_449 Depth=2
	s_or_b64 exec, exec, s[74:75]
	v_lshlrev_b32_e32 v7, 16, v29
	v_lshlrev_b32_e32 v8, 16, v33
	v_add_f32_e32 v8, v7, v8
	v_and_b32_e32 v7, 0x7f800000, v8
	v_cmp_ne_u32_e32 vcc, s38, v7
                                        ; implicit-def: $vgpr7
	s_and_saveexec_b64 s[74:75], vcc
	s_xor_b64 s[74:75], exec, s[74:75]
; %bb.514:                              ;   in Loop: Header=BB8_449 Depth=2
	v_bfe_u32 v7, v8, 16, 1
	v_add3_u32 v7, v8, v7, s39
                                        ; implicit-def: $vgpr8
; %bb.515:                              ;   in Loop: Header=BB8_449 Depth=2
	s_andn2_saveexec_b64 s[74:75], s[74:75]
	s_cbranch_execz .LBB8_448
; %bb.516:                              ;   in Loop: Header=BB8_449 Depth=2
	v_or_b32_e32 v7, 0x10000, v8
	v_cmp_eq_u32_sdwa vcc, v8, v60 src0_sel:WORD_0 src1_sel:DWORD
	v_cndmask_b32_e32 v7, v7, v8, vcc
	s_branch .LBB8_448
.LBB8_517:                              ;   in Loop: Header=BB8_49 Depth=1
	s_or_b64 exec, exec, s[62:63]
	v_lshlrev_b32_e32 v37, 16, v50
	v_lshlrev_b32_e32 v34, 16, v38
	;; [unrolled: 1-line block ×6, first 2 shown]
	buffer_load_dword v38, off, s[0:3], s33 offset:192 ; 4-byte Folded Reload
	buffer_load_dword v39, off, s[0:3], s33 offset:196 ; 4-byte Folded Reload
	;; [unrolled: 1-line block ×10, first 2 shown]
	v_lshlrev_b32_e32 v1, 16, v25
	buffer_load_dword v25, off, s[0:3], s33 offset:260 ; 4-byte Folded Reload
	v_lshlrev_b32_e32 v6, 16, v53
	v_lshlrev_b32_e32 v7, 16, v18
	;; [unrolled: 1-line block ×9, first 2 shown]
	s_and_b64 s[60:61], s[60:61], exec
	v_mov_b32_e32 v27, v42
	v_mov_b32_e32 v26, 1
	;; [unrolled: 1-line block ×5, first 2 shown]
.LBB8_518:                              ;   in Loop: Header=BB8_49 Depth=1
	s_or_b64 exec, exec, s[20:21]
	s_and_saveexec_b64 s[20:21], s[60:61]
	s_cbranch_execz .LBB8_552
; %bb.519:                              ;   in Loop: Header=BB8_49 Depth=1
	v_add_f32_e32 v6, v7, v6
	v_and_b32_e32 v7, 0x7f800000, v6
	v_cmp_ne_u32_e32 vcc, s38, v7
                                        ; implicit-def: $vgpr12
	s_and_saveexec_b64 s[60:61], vcc
	s_xor_b64 s[60:61], exec, s[60:61]
; %bb.520:                              ;   in Loop: Header=BB8_49 Depth=1
	v_bfe_u32 v7, v6, 16, 1
	v_add3_u32 v12, v6, v7, s39
                                        ; implicit-def: $vgpr6
; %bb.521:                              ;   in Loop: Header=BB8_49 Depth=1
	s_andn2_saveexec_b64 s[60:61], s[60:61]
; %bb.522:                              ;   in Loop: Header=BB8_49 Depth=1
	v_or_b32_e32 v7, 0x10000, v6
	v_cmp_eq_u32_sdwa vcc, v6, v60 src0_sel:WORD_0 src1_sel:DWORD
	v_cndmask_b32_e32 v12, v7, v6, vcc
; %bb.523:                              ;   in Loop: Header=BB8_49 Depth=1
	s_or_b64 exec, exec, s[60:61]
	v_add_f32_e32 v6, v19, v37
	v_and_b32_e32 v7, 0x7f800000, v6
	v_cmp_ne_u32_e32 vcc, s38, v7
                                        ; implicit-def: $vgpr19
	s_and_saveexec_b64 s[60:61], vcc
	s_xor_b64 s[60:61], exec, s[60:61]
; %bb.524:                              ;   in Loop: Header=BB8_49 Depth=1
	v_bfe_u32 v7, v6, 16, 1
	v_add3_u32 v19, v6, v7, s39
                                        ; implicit-def: $vgpr6
; %bb.525:                              ;   in Loop: Header=BB8_49 Depth=1
	s_andn2_saveexec_b64 s[60:61], s[60:61]
; %bb.526:                              ;   in Loop: Header=BB8_49 Depth=1
	v_or_b32_e32 v7, 0x10000, v6
	v_cmp_eq_u32_sdwa vcc, v6, v60 src0_sel:WORD_0 src1_sel:DWORD
	v_cndmask_b32_e32 v19, v7, v6, vcc
; %bb.527:                              ;   in Loop: Header=BB8_49 Depth=1
	s_or_b64 exec, exec, s[60:61]
	v_add_f32_e32 v6, v36, v34
	v_and_b32_e32 v7, 0x7f800000, v6
	v_cmp_ne_u32_e32 vcc, s38, v7
                                        ; implicit-def: $vgpr22
	s_and_saveexec_b64 s[60:61], vcc
	s_xor_b64 s[60:61], exec, s[60:61]
; %bb.528:                              ;   in Loop: Header=BB8_49 Depth=1
	v_bfe_u32 v7, v6, 16, 1
	v_add3_u32 v22, v6, v7, s39
                                        ; implicit-def: $vgpr6
; %bb.529:                              ;   in Loop: Header=BB8_49 Depth=1
	s_andn2_saveexec_b64 s[60:61], s[60:61]
; %bb.530:                              ;   in Loop: Header=BB8_49 Depth=1
	v_or_b32_e32 v7, 0x10000, v6
	v_cmp_eq_u32_sdwa vcc, v6, v60 src0_sel:WORD_0 src1_sel:DWORD
	v_cndmask_b32_e32 v22, v7, v6, vcc
; %bb.531:                              ;   in Loop: Header=BB8_49 Depth=1
	s_or_b64 exec, exec, s[60:61]
	v_add_f32_e32 v6, v33, v29
	v_and_b32_e32 v7, 0x7f800000, v6
	v_cmp_ne_u32_e32 vcc, s38, v7
                                        ; implicit-def: $vgpr23
	s_and_saveexec_b64 s[60:61], vcc
	s_xor_b64 s[60:61], exec, s[60:61]
; %bb.532:                              ;   in Loop: Header=BB8_49 Depth=1
	v_bfe_u32 v7, v6, 16, 1
	v_add3_u32 v23, v6, v7, s39
                                        ; implicit-def: $vgpr6
; %bb.533:                              ;   in Loop: Header=BB8_49 Depth=1
	s_andn2_saveexec_b64 s[60:61], s[60:61]
; %bb.534:                              ;   in Loop: Header=BB8_49 Depth=1
	v_or_b32_e32 v7, 0x10000, v6
	v_cmp_eq_u32_sdwa vcc, v6, v60 src0_sel:WORD_0 src1_sel:DWORD
	v_cndmask_b32_e32 v23, v7, v6, vcc
; %bb.535:                              ;   in Loop: Header=BB8_49 Depth=1
	s_or_b64 exec, exec, s[60:61]
	v_add_f32_e32 v6, v21, v20
	v_and_b32_e32 v7, 0x7f800000, v6
	v_cmp_ne_u32_e32 vcc, s38, v7
                                        ; implicit-def: $vgpr20
	s_and_saveexec_b64 s[60:61], vcc
	s_xor_b64 s[60:61], exec, s[60:61]
; %bb.536:                              ;   in Loop: Header=BB8_49 Depth=1
	v_bfe_u32 v7, v6, 16, 1
	v_add3_u32 v20, v6, v7, s39
                                        ; implicit-def: $vgpr6
; %bb.537:                              ;   in Loop: Header=BB8_49 Depth=1
	s_andn2_saveexec_b64 s[60:61], s[60:61]
; %bb.538:                              ;   in Loop: Header=BB8_49 Depth=1
	v_or_b32_e32 v7, 0x10000, v6
	v_cmp_eq_u32_sdwa vcc, v6, v60 src0_sel:WORD_0 src1_sel:DWORD
	v_cndmask_b32_e32 v20, v7, v6, vcc
; %bb.539:                              ;   in Loop: Header=BB8_49 Depth=1
	s_or_b64 exec, exec, s[60:61]
	v_add_f32_e32 v7, v18, v13
	v_and_b32_e32 v6, 0x7f800000, v7
	v_cmp_ne_u32_e32 vcc, s38, v6
                                        ; implicit-def: $vgpr6
	s_and_saveexec_b64 s[60:61], vcc
	s_xor_b64 s[60:61], exec, s[60:61]
; %bb.540:                              ;   in Loop: Header=BB8_49 Depth=1
	v_bfe_u32 v6, v7, 16, 1
	v_add3_u32 v6, v7, v6, s39
                                        ; implicit-def: $vgpr7
; %bb.541:                              ;   in Loop: Header=BB8_49 Depth=1
	s_andn2_saveexec_b64 s[60:61], s[60:61]
; %bb.542:                              ;   in Loop: Header=BB8_49 Depth=1
	v_or_b32_e32 v6, 0x10000, v7
	v_cmp_eq_u32_sdwa vcc, v7, v60 src0_sel:WORD_0 src1_sel:DWORD
	v_cndmask_b32_e32 v6, v6, v7, vcc
; %bb.543:                              ;   in Loop: Header=BB8_49 Depth=1
	s_or_b64 exec, exec, s[60:61]
	v_add_f32_e32 v5, v5, v4
	v_and_b32_e32 v4, 0x7f800000, v5
	v_cmp_ne_u32_e32 vcc, s38, v4
                                        ; implicit-def: $vgpr4
	s_and_saveexec_b64 s[60:61], vcc
	s_xor_b64 s[60:61], exec, s[60:61]
; %bb.544:                              ;   in Loop: Header=BB8_49 Depth=1
	v_bfe_u32 v4, v5, 16, 1
	v_add3_u32 v4, v5, v4, s39
                                        ; implicit-def: $vgpr5
; %bb.545:                              ;   in Loop: Header=BB8_49 Depth=1
	s_andn2_saveexec_b64 s[60:61], s[60:61]
; %bb.546:                              ;   in Loop: Header=BB8_49 Depth=1
	v_or_b32_e32 v4, 0x10000, v5
	v_cmp_eq_u32_sdwa vcc, v5, v60 src0_sel:WORD_0 src1_sel:DWORD
	v_cndmask_b32_e32 v4, v4, v5, vcc
; %bb.547:                              ;   in Loop: Header=BB8_49 Depth=1
	s_or_b64 exec, exec, s[60:61]
	v_add_f32_e32 v1, v1, v0
	v_and_b32_e32 v0, 0x7f800000, v1
	v_cmp_ne_u32_e32 vcc, s38, v0
                                        ; implicit-def: $vgpr0
	s_and_saveexec_b64 s[60:61], vcc
	s_xor_b64 s[60:61], exec, s[60:61]
; %bb.548:                              ;   in Loop: Header=BB8_49 Depth=1
	v_bfe_u32 v0, v1, 16, 1
	v_add3_u32 v0, v1, v0, s39
                                        ; implicit-def: $vgpr1
; %bb.549:                              ;   in Loop: Header=BB8_49 Depth=1
	s_andn2_saveexec_b64 s[60:61], s[60:61]
; %bb.550:                              ;   in Loop: Header=BB8_49 Depth=1
	v_or_b32_e32 v0, 0x10000, v1
	v_cmp_eq_u32_sdwa vcc, v1, v60 src0_sel:WORD_0 src1_sel:DWORD
	v_cndmask_b32_e32 v0, v0, v1, vcc
; %bb.551:                              ;   in Loop: Header=BB8_49 Depth=1
	s_or_b64 exec, exec, s[60:61]
	flat_store_short_d16_hi v[10:11], v12 glc slc
	flat_store_short_d16_hi v[10:11], v19 offset:128 glc slc
	flat_store_short_d16_hi v[10:11], v22 offset:256 glc slc
	;; [unrolled: 1-line block ×7, first 2 shown]
.LBB8_552:                              ;   in Loop: Header=BB8_49 Depth=1
	s_or_b64 exec, exec, s[20:21]
	buffer_load_dword v1, off, s[0:3], s33 offset:236 ; 4-byte Folded Reload
	v_lshlrev_b32_e32 v0, 10, v14
	s_waitcnt vmcnt(0)
	v_cmp_ne_u32_e32 vcc, v1, v0
	s_and_b64 exec, exec, vcc
	s_cbranch_execz .LBB8_577
; %bb.553:                              ;   in Loop: Header=BB8_49 Depth=1
	v_lshlrev_b32_e32 v1, 6, v17
	v_sub_u32_e32 v1, v16, v1
	v_ashrrev_i32_e32 v4, 31, v1
	v_lshrrev_b32_e32 v4, 26, v4
	v_add_u32_e32 v4, v1, v4
	v_and_b32_e32 v5, 0x7fffffc0, v4
	v_sub_u32_e32 v1, v1, v5
	v_lshlrev_b32_e32 v4, 1, v4
	v_and_b32_e32 v4, 0xffffff80, v4
	v_lshlrev_b32_e32 v1, 1, v1
	v_add3_u32 v0, v4, v1, v0
	buffer_load_dword v1, off, s[0:3], s33 offset:236 ; 4-byte Folded Reload
	s_waitcnt vmcnt(0)
	v_sub_u32_e32 v4, v1, v0
	v_cmp_lt_i32_e32 vcc, 1, v4
	s_and_b64 exec, exec, vcc
	s_cbranch_execz .LBB8_577
; %bb.554:                              ;   in Loop: Header=BB8_49 Depth=1
	s_trap 2
	ds_read_b64 v[5:6], v0
	v_add_u32_e32 v7, v0, v15
	buffer_load_dword v0, off, s[0:3], s33 offset:252 ; 4-byte Folded Reload
	buffer_load_dword v1, off, s[0:3], s33 offset:256 ; 4-byte Folded Reload
	;; [unrolled: 1-line block ×4, first 2 shown]
	v_ashrrev_i32_e32 v8, 31, v7
	s_mov_b64 s[72:73], 0
	s_mov_b64 s[60:61], 0
                                        ; implicit-def: $sgpr62_sgpr63
	s_waitcnt vmcnt(0)
	v_add_co_u32_e32 v0, vcc, v0, v7
	v_addc_co_u32_e32 v1, vcc, v1, v8, vcc
	v_add_co_u32_e32 v12, vcc, v7, v9
	v_addc_co_u32_e32 v11, vcc, v8, v10, vcc
	s_waitcnt lgkmcnt(0)
	v_add_co_u32_e32 v10, vcc, v5, v7
	v_addc_co_u32_e32 v5, vcc, v6, v8, vcc
	s_branch .LBB8_556
.LBB8_555:                              ;   in Loop: Header=BB8_556 Depth=2
	s_or_b64 exec, exec, s[20:21]
	v_lshrrev_b32_e32 v6, 16, v7
	buffer_store_short v6, off, s[0:3], s33 offset:64
	flat_store_short v[0:1], v6 glc slc
	v_add_co_u32_e32 v6, vcc, v12, v49
	v_addc_co_u32_e32 v7, vcc, v11, v50, vcc
	v_add_co_u32_e32 v8, vcc, v10, v49
	v_mov_b32_e32 v14, 0x80
	v_addc_co_u32_e32 v9, vcc, v5, v50, vcc
	v_cndmask_b32_e64 v14, v14, v51, s[72:73]
	v_cndmask_b32_e64 v13, 0, v52, s[72:73]
	v_add_co_u32_e32 v0, vcc, v0, v14
	v_cndmask_b32_e64 v12, v12, v6, s[72:73]
	v_cndmask_b32_e64 v6, 0, v48, s[72:73]
	v_addc_co_u32_e32 v1, vcc, v1, v13, vcc
	v_sub_u32_e32 v4, v4, v6
	v_cmp_gt_i32_e32 vcc, 2, v4
	s_or_b64 s[60:61], vcc, s[60:61]
	s_andn2_b64 s[20:21], s[62:63], exec
	s_and_b64 s[62:63], s[72:73], exec
	v_cndmask_b32_e64 v5, v5, v9, s[72:73]
	v_cndmask_b32_e64 v10, v10, v8, s[72:73]
	;; [unrolled: 1-line block ×3, first 2 shown]
	s_or_b64 s[62:63], s[20:21], s[62:63]
	s_andn2_b64 exec, exec, s[60:61]
	s_cbranch_execz .LBB8_571
.LBB8_556:                              ;   Parent Loop BB8_49 Depth=1
                                        ; =>  This Loop Header: Depth=2
                                        ;       Child Loop BB8_557 Depth 3
                                        ;       Child Loop BB8_566 Depth 3
	s_lshr_b32 s78, s33, 6
	s_add_i32 s78, s78, 64
	s_mov_b64 s[74:75], -1
	s_mov_b64 s[76:77], 0
.LBB8_557:                              ;   Parent Loop BB8_49 Depth=1
                                        ;     Parent Loop BB8_556 Depth=2
                                        ; =>    This Inner Loop Header: Depth=3
	s_cmp_eq_u32 s76, 1
	s_cselect_b64 s[20:21], -1, 0
	v_cndmask_b32_e64 v7, v11, v5, s[20:21]
	v_cndmask_b32_e64 v6, v12, v10, s[20:21]
	flat_load_ushort v8, v[6:7] glc slc
	v_add_co_u32_e32 v6, vcc, 0x80, v6
	v_addc_co_u32_e32 v7, vcc, 0, v7, vcc
	s_cmp_eq_u32 s76, 0
	v_mov_b32_e32 v9, s78
	s_cselect_b64 vcc, -1, 0
	s_lshr_b32 s78, s33, 6
	s_addk_i32 s78, 0x60
	v_cndmask_b32_e64 v5, v5, v7, s[20:21]
	v_cndmask_b32_e64 v10, v10, v6, s[20:21]
	v_cndmask_b32_e32 v11, v11, v7, vcc
	v_cndmask_b32_e32 v12, v12, v6, vcc
	s_mov_b64 s[76:77], 1
	s_and_b64 vcc, exec, s[74:75]
	s_mov_b64 s[74:75], 0
	s_waitcnt vmcnt(0) lgkmcnt(0)
	buffer_store_short v8, v9, s[0:3], 0 offen
	s_cbranch_vccnz .LBB8_557
; %bb.558:                              ;   in Loop: Header=BB8_556 Depth=2
	s_and_saveexec_b64 s[20:21], s[72:73]
	s_cbranch_execz .LBB8_564
; %bb.559:                              ;   in Loop: Header=BB8_556 Depth=2
	buffer_load_ushort v6, off, s[0:3], s33 offset:62
	buffer_load_ushort v7, off, s[0:3], s33 offset:60
	s_waitcnt vmcnt(1)
	v_lshlrev_b32_e32 v6, 16, v6
	s_waitcnt vmcnt(0)
	v_lshlrev_b32_e32 v7, 16, v7
	v_add_f32_e32 v6, v7, v6
	v_and_b32_e32 v7, 0x7f800000, v6
	v_cmp_ne_u32_e32 vcc, s38, v7
                                        ; implicit-def: $vgpr7
	s_and_saveexec_b64 s[72:73], vcc
	s_xor_b64 s[72:73], exec, s[72:73]
; %bb.560:                              ;   in Loop: Header=BB8_556 Depth=2
	v_bfe_u32 v7, v6, 16, 1
	v_add3_u32 v7, v6, v7, s39
                                        ; implicit-def: $vgpr6
; %bb.561:                              ;   in Loop: Header=BB8_556 Depth=2
	s_andn2_saveexec_b64 s[72:73], s[72:73]
; %bb.562:                              ;   in Loop: Header=BB8_556 Depth=2
	v_or_b32_e32 v7, 0x10000, v6
	v_cmp_eq_u32_sdwa vcc, v6, v60 src0_sel:WORD_0 src1_sel:DWORD
	v_cndmask_b32_e32 v7, v7, v6, vcc
; %bb.563:                              ;   in Loop: Header=BB8_556 Depth=2
	s_or_b64 exec, exec, s[72:73]
	v_lshrrev_b32_e32 v6, 16, v7
	flat_store_short v[0:1], v6 glc slc
	v_add_co_u32_e32 v0, vcc, v0, v51
	v_addc_co_u32_e32 v1, vcc, v1, v52, vcc
	buffer_store_short v6, off, s[0:3], s33 offset:60
.LBB8_564:                              ;   in Loop: Header=BB8_556 Depth=2
	s_or_b64 exec, exec, s[20:21]
	v_add_co_u32_e32 v12, vcc, v12, v49
	v_addc_co_u32_e32 v11, vcc, v11, v50, vcc
	v_add_co_u32_e32 v10, vcc, v10, v49
	v_sub_u32_e32 v4, v4, v48
	v_addc_co_u32_e32 v5, vcc, v5, v50, vcc
	v_cmp_lt_i32_e64 s[72:73], 1, v4
	s_and_saveexec_b64 s[74:75], s[72:73]
	s_cbranch_execz .LBB8_567
; %bb.565:                              ;   in Loop: Header=BB8_556 Depth=2
	s_lshr_b32 s88, s33, 6
	s_add_i32 s88, s88, 60
	s_mov_b64 s[78:79], 0
	s_mov_b64 s[76:77], -1
.LBB8_566:                              ;   Parent Loop BB8_49 Depth=1
                                        ;     Parent Loop BB8_556 Depth=2
                                        ; =>    This Inner Loop Header: Depth=3
	s_cmp_eq_u32 s78, 1
	s_cselect_b64 s[20:21], -1, 0
	v_cndmask_b32_e64 v7, v11, v5, s[20:21]
	v_cndmask_b32_e64 v6, v12, v10, s[20:21]
	flat_load_ushort v8, v[6:7] glc slc
	v_add_co_u32_e32 v6, vcc, 0x80, v6
	v_addc_co_u32_e32 v7, vcc, 0, v7, vcc
	s_cmp_eq_u32 s78, 0
	v_mov_b32_e32 v9, s88
	s_cselect_b64 vcc, -1, 0
	s_lshr_b32 s88, s33, 6
	s_add_i32 s88, s88, 62
	v_cndmask_b32_e32 v11, v11, v7, vcc
	v_cndmask_b32_e32 v12, v12, v6, vcc
	v_cndmask_b32_e64 v5, v5, v7, s[20:21]
	v_cndmask_b32_e64 v10, v10, v6, s[20:21]
	s_mov_b64 s[78:79], 1
	s_and_b64 vcc, exec, s[76:77]
	s_mov_b64 s[76:77], 0
	s_waitcnt vmcnt(0) lgkmcnt(0)
	buffer_store_short v8, v9, s[0:3], 0 offen
	s_cbranch_vccnz .LBB8_566
.LBB8_567:                              ;   in Loop: Header=BB8_556 Depth=2
	s_or_b64 exec, exec, s[74:75]
	buffer_load_ushort v6, off, s[0:3], s33 offset:96
	buffer_load_ushort v7, off, s[0:3], s33 offset:64
	s_waitcnt vmcnt(0)
	v_lshlrev_b32_e32 v6, 16, v6
	v_lshlrev_b32_e32 v7, 16, v7
	v_add_f32_e32 v6, v7, v6
	v_and_b32_e32 v7, 0x7f800000, v6
	v_cmp_ne_u32_e32 vcc, s38, v7
                                        ; implicit-def: $vgpr7
	s_and_saveexec_b64 s[20:21], vcc
	s_xor_b64 s[20:21], exec, s[20:21]
; %bb.568:                              ;   in Loop: Header=BB8_556 Depth=2
	v_bfe_u32 v7, v6, 16, 1
	v_add3_u32 v7, v6, v7, s39
                                        ; implicit-def: $vgpr6
; %bb.569:                              ;   in Loop: Header=BB8_556 Depth=2
	s_andn2_saveexec_b64 s[20:21], s[20:21]
	s_cbranch_execz .LBB8_555
; %bb.570:                              ;   in Loop: Header=BB8_556 Depth=2
	v_or_b32_e32 v7, 0x10000, v6
	v_cmp_eq_u32_sdwa vcc, v6, v60 src0_sel:WORD_0 src1_sel:DWORD
	v_cndmask_b32_e32 v7, v7, v6, vcc
	s_branch .LBB8_555
.LBB8_571:                              ;   in Loop: Header=BB8_49 Depth=1
	s_or_b64 exec, exec, s[60:61]
	s_and_b64 exec, exec, s[62:63]
	s_cbranch_execz .LBB8_577
; %bb.572:                              ;   in Loop: Header=BB8_49 Depth=1
	buffer_load_ushort v4, off, s[0:3], s33 offset:62
	buffer_load_ushort v5, off, s[0:3], s33 offset:60
	s_waitcnt vmcnt(0)
	v_lshlrev_b32_e32 v4, 16, v4
	v_lshlrev_b32_e32 v5, 16, v5
	v_add_f32_e32 v4, v5, v4
	v_and_b32_e32 v5, 0x7f800000, v4
	v_cmp_ne_u32_e32 vcc, s38, v5
                                        ; implicit-def: $vgpr5
	s_and_saveexec_b64 s[20:21], vcc
	s_xor_b64 s[20:21], exec, s[20:21]
; %bb.573:                              ;   in Loop: Header=BB8_49 Depth=1
	v_bfe_u32 v5, v4, 16, 1
	v_add3_u32 v5, v4, v5, s39
                                        ; implicit-def: $vgpr4
; %bb.574:                              ;   in Loop: Header=BB8_49 Depth=1
	s_andn2_saveexec_b64 s[20:21], s[20:21]
; %bb.575:                              ;   in Loop: Header=BB8_49 Depth=1
	v_or_b32_e32 v5, 0x10000, v4
	v_cmp_eq_u32_sdwa vcc, v4, v60 src0_sel:WORD_0 src1_sel:DWORD
	v_cndmask_b32_e32 v5, v5, v4, vcc
; %bb.576:                              ;   in Loop: Header=BB8_49 Depth=1
	s_or_b64 exec, exec, s[20:21]
	flat_store_short_d16_hi v[0:1], v5 glc slc
.LBB8_577:                              ;   in Loop: Header=BB8_49 Depth=1
	s_or_b64 exec, exec, s[22:23]
	s_waitcnt vmcnt(0)
	v_cmp_ne_u32_e64 s[20:21], 0, v25
	s_and_saveexec_b64 s[22:23], s[10:11]
	s_cbranch_execz .LBB8_596
.LBB8_578:                              ;   in Loop: Header=BB8_49 Depth=1
	s_and_saveexec_b64 s[60:61], s[42:43]
	s_xor_b64 s[60:61], exec, s[60:61]
	s_cbranch_execz .LBB8_593
; %bb.579:                              ;   in Loop: Header=BB8_49 Depth=1
	s_and_saveexec_b64 s[62:63], s[12:13]
	s_cbranch_execz .LBB8_592
; %bb.580:                              ;   in Loop: Header=BB8_49 Depth=1
	s_mov_b64 s[74:75], exec
	v_mbcnt_lo_u32_b32 v0, s74, 0
	v_mbcnt_hi_u32_b32 v0, s75, v0
	v_cmp_eq_u32_e32 vcc, 0, v0
	s_waitcnt vmcnt(0) lgkmcnt(0)
	buffer_wbinvl1_vol
	s_and_saveexec_b64 s[72:73], vcc
	s_cbranch_execz .LBB8_582
; %bb.581:                              ;   in Loop: Header=BB8_49 Depth=1
	s_bcnt1_i32_b64 s74, s[74:75]
	v_mov_b32_e32 v0, s74
	v_mov_b32_e32 v1, v60
	ds_add_u64 v0, v[0:1]
	s_trap 2
.LBB8_582:                              ;   in Loop: Header=BB8_49 Depth=1
	s_or_b64 exec, exec, s[72:73]
	s_trap 2
	ds_read_b64 v[0:1], v0
	s_waitcnt lgkmcnt(0)
	buffer_load_dword v4, off, s[0:3], s33 offset:128 ; 4-byte Folded Reload
	buffer_load_dword v5, off, s[0:3], s33 offset:132 ; 4-byte Folded Reload
	s_waitcnt vmcnt(1)
	v_add_co_u32_e32 v4, vcc, v4, v57
	s_waitcnt vmcnt(0)
	v_addc_co_u32_e32 v5, vcc, 0, v5, vcc
	buffer_store_dword v4, off, s[0:3], s33 offset:128 ; 4-byte Folded Spill
	s_nop 0
	buffer_store_dword v5, off, s[0:3], s33 offset:132 ; 4-byte Folded Spill
	v_cmp_lt_u64_e32 vcc, v[0:1], v[4:5]
	s_and_saveexec_b64 s[72:73], vcc
	s_cbranch_execz .LBB8_591
; %bb.583:                              ;   in Loop: Header=BB8_49 Depth=1
	s_mov_b32 s94, 0
	s_mov_b64 s[74:75], 0
                                        ; implicit-def: $sgpr76_sgpr77
                                        ; implicit-def: $sgpr78_sgpr79
	s_branch .LBB8_585
.LBB8_584:                              ;   in Loop: Header=BB8_585 Depth=2
	s_or_b64 exec, exec, s[90:91]
	s_and_b64 s[88:89], exec, s[92:93]
	s_or_b64 s[74:75], s[88:89], s[74:75]
	s_andn2_b64 s[76:77], s[76:77], exec
	s_and_b64 s[88:89], s[78:79], exec
	s_or_b64 s[76:77], s[76:77], s[88:89]
	s_andn2_b64 exec, exec, s[74:75]
	s_cbranch_execz .LBB8_589
.LBB8_585:                              ;   Parent Loop BB8_49 Depth=1
                                        ; =>  This Inner Loop Header: Depth=2
	s_add_i32 s94, s94, 1
	s_cmpk_lg_i32 s94, 0x2710
	s_cselect_b64 s[88:89], -1, 0
	s_and_b64 vcc, exec, s[88:89]
	s_cbranch_vccz .LBB8_587
; %bb.586:                              ;   in Loop: Header=BB8_585 Depth=2
	s_mov_b64 s[92:93], -1
	s_or_b64 s[78:79], s[78:79], exec
	s_and_saveexec_b64 s[90:91], s[88:89]
	s_cbranch_execz .LBB8_584
	s_branch .LBB8_588
.LBB8_587:                              ;   in Loop: Header=BB8_585 Depth=2
	s_trap 2
	ds_read_b64 v[0:1], v0
	s_andn2_b64 s[88:89], s[88:89], exec
	s_mov_b32 s94, 0
	s_waitcnt vmcnt(0) lgkmcnt(0)
	flat_load_dword v0, v[0:1] glc
	s_waitcnt vmcnt(0) lgkmcnt(0)
	buffer_wbinvl1_vol
	v_cmp_eq_u32_e32 vcc, 0, v0
	s_and_b64 s[90:91], vcc, exec
	s_or_b64 s[88:89], s[88:89], s[90:91]
	s_mov_b64 s[92:93], -1
	s_or_b64 s[78:79], s[78:79], exec
	s_and_saveexec_b64 s[90:91], s[88:89]
	s_cbranch_execz .LBB8_584
.LBB8_588:                              ;   in Loop: Header=BB8_585 Depth=2
	s_sleep 1
	s_trap 2
	ds_read_b64 v[0:1], v0
	s_waitcnt lgkmcnt(0)
	buffer_load_dword v4, off, s[0:3], s33 offset:128 ; 4-byte Folded Reload
	buffer_load_dword v5, off, s[0:3], s33 offset:132 ; 4-byte Folded Reload
	s_andn2_b64 s[78:79], s[78:79], exec
	s_waitcnt vmcnt(0)
	v_cmp_ge_u64_e32 vcc, v[0:1], v[4:5]
	s_orn2_b64 s[92:93], vcc, exec
	s_branch .LBB8_584
.LBB8_589:                              ;   in Loop: Header=BB8_49 Depth=1
	s_or_b64 exec, exec, s[74:75]
	s_and_saveexec_b64 s[74:75], s[76:77]
	s_xor_b64 s[74:75], exec, s[74:75]
	s_cbranch_execz .LBB8_591
; %bb.590:                              ;   in Loop: Header=BB8_49 Depth=1
	ds_write_b32 v0, v26
	s_trap 2
.LBB8_591:                              ;   in Loop: Header=BB8_49 Depth=1
	s_or_b64 exec, exec, s[72:73]
	;;#ASMSTART
	s_wakeup
	;;#ASMEND
.LBB8_592:                              ;   in Loop: Header=BB8_49 Depth=1
	s_or_b64 exec, exec, s[62:63]
.LBB8_593:                              ;   in Loop: Header=BB8_49 Depth=1
	s_andn2_saveexec_b64 s[60:61], s[60:61]
	s_cbranch_execz .LBB8_595
; %bb.594:                              ;   in Loop: Header=BB8_49 Depth=1
	s_waitcnt vmcnt(0) lgkmcnt(0)
	buffer_wbinvl1_vol
	s_barrier
.LBB8_595:                              ;   in Loop: Header=BB8_49 Depth=1
	s_or_b64 exec, exec, s[60:61]
.LBB8_596:                              ;   in Loop: Header=BB8_49 Depth=1
	s_or_b64 exec, exec, s[22:23]
	v_and_b32_e32 v0, 16, v27
	v_cmp_ne_u32_e32 vcc, 0, v0
	s_and_b64 s[22:23], vcc, s[20:21]
	s_and_saveexec_b64 s[20:21], s[22:23]
	s_cbranch_execz .LBB8_598
; %bb.597:                              ;   in Loop: Header=BB8_49 Depth=1
	s_waitcnt vmcnt(0) lgkmcnt(0)
	buffer_wbinvl1_vol
.LBB8_598:                              ;   in Loop: Header=BB8_49 Depth=1
	s_or_b64 exec, exec, s[20:21]
	v_cmp_ne_u32_e32 vcc, 0, v0
	s_xor_b64 s[20:21], s[18:19], -1
	s_and_b64 s[22:23], vcc, s[20:21]
	s_and_saveexec_b64 s[20:21], s[22:23]
	s_cbranch_execz .LBB8_600
; %bb.599:                              ;   in Loop: Header=BB8_49 Depth=1
	buffer_load_dword v0, off, s[0:3], s33 offset:216 ; 4-byte Folded Reload
	buffer_load_dword v1, off, s[0:3], s33 offset:220 ; 4-byte Folded Reload
	s_waitcnt vmcnt(0)
	flat_store_dword v[0:1], v26
.LBB8_600:                              ;   in Loop: Header=BB8_49 Depth=1
	s_or_b64 exec, exec, s[20:21]
	v_and_b32_e32 v0, 48, v27
	v_cmp_ne_u32_e32 vcc, 0, v0
	s_and_saveexec_b64 s[20:21], vcc
	s_cbranch_execz .LBB8_602
; %bb.601:                              ;   in Loop: Header=BB8_49 Depth=1
	buffer_load_dword v4, off, s[0:3], s33 offset:136 ; 4-byte Folded Reload
	buffer_load_dword v5, off, s[0:3], s33 offset:140 ; 4-byte Folded Reload
	;; [unrolled: 1-line block ×4, first 2 shown]
	s_waitcnt vmcnt(0)
	v_add_co_u32_e32 v6, vcc, 1, v6
	v_addc_co_u32_e32 v7, vcc, 0, v7, vcc
	buffer_store_dword v4, off, s[0:3], s33 offset:136 ; 4-byte Folded Spill
	s_nop 0
	buffer_store_dword v5, off, s[0:3], s33 offset:140 ; 4-byte Folded Spill
	buffer_store_dword v6, off, s[0:3], s33 offset:144 ; 4-byte Folded Spill
	;; [unrolled: 1-line block ×3, first 2 shown]
	flat_store_dwordx2 v[40:41], v[6:7]
.LBB8_602:                              ;   in Loop: Header=BB8_49 Depth=1
	s_or_b64 exec, exec, s[20:21]
	v_mov_b32_e32 v0, v24
.LBB8_603:                              ;   in Loop: Header=BB8_49 Depth=1
	s_or_b64 exec, exec, s[58:59]
	s_and_saveexec_b64 s[22:23], s[56:57]
	s_cbranch_execz .LBB8_48
; %bb.604:                              ;   in Loop: Header=BB8_49 Depth=1
	v_sub_u32_e32 v0, v54, v0
	v_min_i32_e32 v0, v24, v0
	v_and_b32_e32 v1, 12, v27
	v_cmp_ne_u32_e32 vcc, 0, v1
	s_mov_b64 s[56:57], exec
	buffer_load_dword v15, off, s[0:3], s33 offset:136 ; 4-byte Folded Reload
	buffer_load_dword v16, off, s[0:3], s33 offset:140 ; 4-byte Folded Reload
	;; [unrolled: 1-line block ×4, first 2 shown]
	s_and_b64 s[20:21], s[56:57], vcc
	s_mov_b64 exec, s[20:21]
	s_cbranch_execz .LBB8_630
; %bb.605:                              ;   in Loop: Header=BB8_49 Depth=1
	v_and_b32_e32 v14, 8, v27
	v_add_co_u32_e32 v4, vcc, v44, v14
	v_addc_co_u32_e32 v5, vcc, 0, v45, vcc
	s_waitcnt vmcnt(0)
	v_add_co_u32_e32 v10, vcc, 1, v17
	v_addc_co_u32_e32 v11, vcc, 0, v18, vcc
	v_cmp_lt_u64_e32 vcc, v[4:5], v[10:11]
	s_and_saveexec_b64 s[58:59], vcc
	s_cbranch_execz .LBB8_617
; %bb.606:                              ;   in Loop: Header=BB8_49 Depth=1
	v_and_b32_e32 v1, 64, v27
	s_mov_b32 s94, 0
	v_cmp_eq_u32_e32 vcc, 0, v1
	s_mov_b64 s[60:61], 0
                                        ; implicit-def: $sgpr62_sgpr63
                                        ; implicit-def: $sgpr72_sgpr73
                                        ; implicit-def: $sgpr74_sgpr75
	s_branch .LBB8_610
.LBB8_607:                              ;   in Loop: Header=BB8_610 Depth=2
	s_waitcnt vmcnt(0) lgkmcnt(0)
	v_add_co_u32_e64 v4, s[20:21], v44, v14
	v_addc_co_u32_e64 v5, s[20:21], 0, v45, s[20:21]
	v_cmp_ge_u64_e64 s[20:21], v[4:5], v[10:11]
	s_or_b64 s[88:89], s[88:89], exec
	s_orn2_b64 s[78:79], s[20:21], exec
.LBB8_608:                              ;   in Loop: Header=BB8_610 Depth=2
	s_or_b64 exec, exec, s[92:93]
	s_andn2_b64 s[20:21], s[74:75], exec
	s_and_b64 s[74:75], s[88:89], exec
	s_or_b64 s[74:75], s[20:21], s[74:75]
	s_andn2_b64 s[20:21], s[72:73], exec
	s_and_b64 s[72:73], s[78:79], exec
	s_or_b64 s[72:73], s[20:21], s[72:73]
.LBB8_609:                              ;   in Loop: Header=BB8_610 Depth=2
	s_or_b64 exec, exec, s[76:77]
	s_and_b64 s[20:21], exec, s[72:73]
	s_or_b64 s[60:61], s[20:21], s[60:61]
	s_andn2_b64 s[20:21], s[62:63], exec
	s_and_b64 s[62:63], s[74:75], exec
	s_or_b64 s[62:63], s[20:21], s[62:63]
	s_andn2_b64 exec, exec, s[60:61]
	s_cbranch_execz .LBB8_614
.LBB8_610:                              ;   Parent Loop BB8_49 Depth=1
                                        ; =>  This Inner Loop Header: Depth=2
	s_sleep 1
	s_waitcnt vmcnt(0) lgkmcnt(0)
	flat_load_dwordx2 v[44:45], v[40:41] glc
	s_or_b64 s[74:75], s[74:75], exec
	s_or_b64 s[72:73], s[72:73], exec
                                        ; implicit-def: $vgpr1
	s_and_saveexec_b64 s[76:77], vcc
	s_cbranch_execz .LBB8_609
; %bb.611:                              ;   in Loop: Header=BB8_610 Depth=2
	s_cmpk_lt_i32 s94, 0x270f
	s_cselect_b64 s[90:91], -1, 0
	s_cmpk_gt_i32 s94, 0x270e
	s_mov_b64 s[78:79], -1
	s_cbranch_scc0 .LBB8_613
; %bb.612:                              ;   in Loop: Header=BB8_610 Depth=2
	s_trap 2
	ds_read_b64 v[4:5], v0
	s_andn2_b64 s[90:91], s[90:91], exec
	s_mov_b32 s94, 0
	s_mov_b64 s[88:89], 0
	s_waitcnt vmcnt(0) lgkmcnt(0)
	flat_load_dword v1, v[4:5] glc
	s_waitcnt vmcnt(0) lgkmcnt(0)
	buffer_wbinvl1_vol
	v_cmp_eq_u32_e64 s[20:21], 0, v1
	s_and_b64 s[20:21], s[20:21], exec
	s_or_b64 s[90:91], s[90:91], s[20:21]
	s_and_saveexec_b64 s[92:93], s[90:91]
	s_cbranch_execz .LBB8_608
	s_branch .LBB8_607
.LBB8_613:                              ;   in Loop: Header=BB8_610 Depth=2
	s_add_i32 s94, s94, 1
	s_mov_b64 s[88:89], -1
                                        ; implicit-def: $vgpr1
	s_and_saveexec_b64 s[92:93], s[90:91]
	s_cbranch_execz .LBB8_608
	s_branch .LBB8_607
.LBB8_614:                              ;   in Loop: Header=BB8_49 Depth=1
	s_or_b64 exec, exec, s[60:61]
	s_xor_b64 s[20:21], s[62:63], -1
	s_and_saveexec_b64 s[60:61], s[20:21]
	s_xor_b64 s[20:21], exec, s[60:61]
	s_cbranch_execz .LBB8_616
; %bb.615:                              ;   in Loop: Header=BB8_49 Depth=1
	v_or_b32_e32 v27, 64, v27
	s_waitcnt lgkmcnt(0)
	ds_write_b32 v0, v1
	s_trap 2
.LBB8_616:                              ;   in Loop: Header=BB8_49 Depth=1
	s_or_b64 exec, exec, s[20:21]
.LBB8_617:                              ;   in Loop: Header=BB8_49 Depth=1
	s_or_b64 exec, exec, s[58:59]
	v_and_b32_e32 v1, 0x108, v27
	v_cmp_ne_u32_e32 vcc, s37, v1
	;;#ASMSTART
	s_wakeup
	;;#ASMEND
                                        ; implicit-def: $vgpr4_vgpr5
	s_and_saveexec_b64 s[20:21], vcc
	s_xor_b64 s[20:21], exec, s[20:21]
; %bb.618:                              ;   in Loop: Header=BB8_49 Depth=1
	v_and_b32_e32 v4, 7, v17
	v_mov_b32_e32 v5, v60
; %bb.619:                              ;   in Loop: Header=BB8_49 Depth=1
	s_andn2_saveexec_b64 s[20:21], s[20:21]
	s_cbranch_execz .LBB8_621
; %bb.620:                              ;   in Loop: Header=BB8_49 Depth=1
	v_and_b32_e32 v4, 7, v17
	v_mad_u64_u32 v[6:7], s[58:59], v4, 24, v[15:16]
	v_ashrrev_i32_e32 v1, 31, v0
	v_lshlrev_b64 v[8:9], 1, v[0:1]
	v_mov_b32_e32 v5, v60
	flat_store_dwordx2 v[6:7], v[8:9] offset:8
.LBB8_621:                              ;   in Loop: Header=BB8_49 Depth=1
	s_or_b64 exec, exec, s[20:21]
	v_and_b32_e32 v1, 0x100, v27
	v_cmp_ne_u32_e32 vcc, 0, v1
	s_mov_b64 s[20:21], -1
                                        ; implicit-def: $vgpr8_vgpr9
	s_and_saveexec_b64 s[58:59], vcc
	s_cbranch_execz .LBB8_625
; %bb.622:                              ;   in Loop: Header=BB8_49 Depth=1
	v_mad_u64_u32 v[12:13], s[20:21], v4, 24, v[15:16]
                                        ; implicit-def: $vgpr8_vgpr9
	v_mov_b32_e32 v1, v13
	v_mad_u64_u32 v[6:7], s[20:21], v5, 24, v[1:2]
	v_mov_b32_e32 v13, v6
	flat_load_dword v1, v[12:13]
	s_waitcnt vmcnt(0) lgkmcnt(0)
	v_cmp_ne_u32_e32 vcc, 1, v1
	v_cmp_eq_u32_e64 s[20:21], 1, v1
	s_and_saveexec_b64 s[60:61], s[20:21]
	s_cbranch_execz .LBB8_624
; %bb.623:                              ;   in Loop: Header=BB8_49 Depth=1
	flat_load_dword v6, v[12:13] offset:4 glc
	s_waitcnt vmcnt(0) lgkmcnt(0)
	v_ashrrev_i32_e32 v7, 31, v6
	v_lshrrev_b64 v[8:9], 1, v[6:7]
.LBB8_624:                              ;   in Loop: Header=BB8_49 Depth=1
	s_or_b64 exec, exec, s[60:61]
	s_orn2_b64 s[20:21], vcc, exec
.LBB8_625:                              ;   in Loop: Header=BB8_49 Depth=1
	s_or_b64 exec, exec, s[58:59]
	s_and_saveexec_b64 s[58:59], s[20:21]
	s_cbranch_execz .LBB8_627
; %bb.626:                              ;   in Loop: Header=BB8_49 Depth=1
	buffer_load_dword v6, off, s[0:3], s33 offset:232 ; 4-byte Folded Reload
	s_waitcnt vmcnt(0)
	v_mul_lo_u32 v1, v5, v6
	v_mul_lo_u32 v5, v4, v28
	v_mad_u64_u32 v[8:9], s[20:21], v4, v6, 0
	v_add3_u32 v9, v9, v5, v1
.LBB8_627:                              ;   in Loop: Header=BB8_49 Depth=1
	s_or_b64 exec, exec, s[58:59]
	buffer_load_dword v6, off, s[0:3], s33 offset:200 ; 4-byte Folded Reload
	buffer_load_dword v7, off, s[0:3], s33 offset:204 ; 4-byte Folded Reload
	v_lshlrev_b64 v[4:5], 1, v[8:9]
	v_cmp_eq_u32_e32 vcc, 0, v14
	v_cndmask_b32_e32 v1, v53, v42, vcc
	v_add_u32_e32 v1, v0, v1
	s_waitcnt vmcnt(0)
	v_add_co_u32_e32 v4, vcc, v6, v4
	v_addc_co_u32_e32 v5, vcc, v7, v5, vcc
	ds_write_b64 v1, v[4:5] offset:584
	v_and_b32_e32 v1, 0x2000, v27
	v_cmp_ne_u32_e32 vcc, 0, v1
	s_and_saveexec_b64 s[20:21], vcc
	s_cbranch_execz .LBB8_629
; %bb.628:                              ;   in Loop: Header=BB8_49 Depth=1
	ds_read_b64 v[4:5], v0 offset:872
	s_waitcnt lgkmcnt(0)
	v_add_co_u32_e32 v4, vcc, 1, v4
	v_addc_co_u32_e32 v5, vcc, 0, v5, vcc
	ds_write_b64 v0, v[4:5] offset:872
.LBB8_629:                              ;   in Loop: Header=BB8_49 Depth=1
	s_or_b64 exec, exec, s[20:21]
	v_mov_b32_e32 v18, v11
	v_mov_b32_e32 v17, v10
.LBB8_630:                              ;   in Loop: Header=BB8_49 Depth=1
	s_or_b64 exec, exec, s[56:57]
	s_and_saveexec_b64 s[20:21], s[10:11]
	s_cbranch_execz .LBB8_649
; %bb.631:                              ;   in Loop: Header=BB8_49 Depth=1
	s_and_saveexec_b64 s[56:57], s[42:43]
	s_xor_b64 s[56:57], exec, s[56:57]
	s_cbranch_execz .LBB8_646
; %bb.632:                              ;   in Loop: Header=BB8_49 Depth=1
	s_and_saveexec_b64 s[58:59], s[12:13]
	s_cbranch_execz .LBB8_645
; %bb.633:                              ;   in Loop: Header=BB8_49 Depth=1
	s_mov_b64 s[62:63], exec
	v_mbcnt_lo_u32_b32 v1, s62, 0
	v_mbcnt_hi_u32_b32 v1, s63, v1
	v_cmp_eq_u32_e32 vcc, 0, v1
	s_waitcnt vmcnt(0) lgkmcnt(0)
	buffer_wbinvl1_vol
	s_and_saveexec_b64 s[60:61], vcc
	s_cbranch_execz .LBB8_635
; %bb.634:                              ;   in Loop: Header=BB8_49 Depth=1
	s_bcnt1_i32_b64 s62, s[62:63]
	v_mov_b32_e32 v4, s62
	v_mov_b32_e32 v5, v60
	ds_add_u64 v0, v[4:5]
	s_trap 2
.LBB8_635:                              ;   in Loop: Header=BB8_49 Depth=1
	s_or_b64 exec, exec, s[60:61]
	s_trap 2
	ds_read_b64 v[4:5], v0
	s_waitcnt lgkmcnt(0)
	buffer_load_dword v6, off, s[0:3], s33 offset:128 ; 4-byte Folded Reload
	buffer_load_dword v7, off, s[0:3], s33 offset:132 ; 4-byte Folded Reload
	s_waitcnt vmcnt(1)
	v_add_co_u32_e32 v6, vcc, v6, v57
	s_waitcnt vmcnt(0)
	v_addc_co_u32_e32 v7, vcc, 0, v7, vcc
	buffer_store_dword v6, off, s[0:3], s33 offset:128 ; 4-byte Folded Spill
	s_nop 0
	buffer_store_dword v7, off, s[0:3], s33 offset:132 ; 4-byte Folded Spill
	v_cmp_lt_u64_e32 vcc, v[4:5], v[6:7]
	s_and_saveexec_b64 s[60:61], vcc
	s_cbranch_execz .LBB8_644
; %bb.636:                              ;   in Loop: Header=BB8_49 Depth=1
	s_mov_b32 s90, 0
	s_mov_b64 s[62:63], 0
                                        ; implicit-def: $sgpr72_sgpr73
                                        ; implicit-def: $sgpr74_sgpr75
	s_branch .LBB8_638
.LBB8_637:                              ;   in Loop: Header=BB8_638 Depth=2
	s_or_b64 exec, exec, s[78:79]
	s_and_b64 s[76:77], exec, s[88:89]
	s_or_b64 s[62:63], s[76:77], s[62:63]
	s_andn2_b64 s[72:73], s[72:73], exec
	s_and_b64 s[76:77], s[74:75], exec
	s_or_b64 s[72:73], s[72:73], s[76:77]
	s_andn2_b64 exec, exec, s[62:63]
	s_cbranch_execz .LBB8_642
.LBB8_638:                              ;   Parent Loop BB8_49 Depth=1
                                        ; =>  This Inner Loop Header: Depth=2
	s_add_i32 s90, s90, 1
	s_cmpk_lg_i32 s90, 0x2710
	s_cselect_b64 s[76:77], -1, 0
	s_and_b64 vcc, exec, s[76:77]
	s_cbranch_vccz .LBB8_640
; %bb.639:                              ;   in Loop: Header=BB8_638 Depth=2
	s_mov_b64 s[88:89], -1
	s_or_b64 s[74:75], s[74:75], exec
	s_and_saveexec_b64 s[78:79], s[76:77]
	s_cbranch_execz .LBB8_637
	s_branch .LBB8_641
.LBB8_640:                              ;   in Loop: Header=BB8_638 Depth=2
	s_trap 2
	ds_read_b64 v[4:5], v0
	s_andn2_b64 s[76:77], s[76:77], exec
	s_mov_b32 s90, 0
	s_waitcnt vmcnt(0) lgkmcnt(0)
	flat_load_dword v1, v[4:5] glc
	s_waitcnt vmcnt(0) lgkmcnt(0)
	buffer_wbinvl1_vol
	v_cmp_eq_u32_e32 vcc, 0, v1
	s_and_b64 s[78:79], vcc, exec
	s_or_b64 s[76:77], s[76:77], s[78:79]
	s_mov_b64 s[88:89], -1
	s_or_b64 s[74:75], s[74:75], exec
	s_and_saveexec_b64 s[78:79], s[76:77]
	s_cbranch_execz .LBB8_637
.LBB8_641:                              ;   in Loop: Header=BB8_638 Depth=2
	s_sleep 1
	s_trap 2
	ds_read_b64 v[4:5], v0
	s_waitcnt lgkmcnt(0)
	buffer_load_dword v6, off, s[0:3], s33 offset:128 ; 4-byte Folded Reload
	buffer_load_dword v7, off, s[0:3], s33 offset:132 ; 4-byte Folded Reload
	s_andn2_b64 s[74:75], s[74:75], exec
	s_waitcnt vmcnt(0)
	v_cmp_ge_u64_e32 vcc, v[4:5], v[6:7]
	s_orn2_b64 s[88:89], vcc, exec
	s_branch .LBB8_637
.LBB8_642:                              ;   in Loop: Header=BB8_49 Depth=1
	s_or_b64 exec, exec, s[62:63]
	s_and_saveexec_b64 s[62:63], s[72:73]
	s_xor_b64 s[62:63], exec, s[62:63]
	s_cbranch_execz .LBB8_644
; %bb.643:                              ;   in Loop: Header=BB8_49 Depth=1
	ds_write_b32 v0, v26
	s_trap 2
.LBB8_644:                              ;   in Loop: Header=BB8_49 Depth=1
	s_or_b64 exec, exec, s[60:61]
	;;#ASMSTART
	s_wakeup
	;;#ASMEND
.LBB8_645:                              ;   in Loop: Header=BB8_49 Depth=1
	s_or_b64 exec, exec, s[58:59]
.LBB8_646:                              ;   in Loop: Header=BB8_49 Depth=1
	s_andn2_saveexec_b64 s[56:57], s[56:57]
	s_cbranch_execz .LBB8_648
; %bb.647:                              ;   in Loop: Header=BB8_49 Depth=1
	s_waitcnt vmcnt(0) lgkmcnt(0)
	buffer_wbinvl1_vol
	s_barrier
.LBB8_648:                              ;   in Loop: Header=BB8_49 Depth=1
	s_or_b64 exec, exec, s[56:57]
.LBB8_649:                              ;   in Loop: Header=BB8_49 Depth=1
	s_or_b64 exec, exec, s[20:21]
	s_trap 2
	ds_read_b32 v1, v0
	v_cmp_lt_i32_e32 vcc, 0, v0
	v_and_b32_e32 v0, 16, v27
	s_waitcnt lgkmcnt(0)
	v_readfirstlane_b32 s20, v1
	s_cmp_eq_u32 s20, 0
	s_cselect_b64 s[20:21], -1, 0
	s_and_b64 s[20:21], vcc, s[20:21]
	v_cmp_ne_u32_e32 vcc, 0, v0
	s_and_b64 s[56:57], vcc, s[20:21]
	s_and_saveexec_b64 s[20:21], s[56:57]
	s_cbranch_execz .LBB8_651
; %bb.650:                              ;   in Loop: Header=BB8_49 Depth=1
	s_waitcnt vmcnt(0)
	buffer_wbinvl1_vol
.LBB8_651:                              ;   in Loop: Header=BB8_49 Depth=1
	s_or_b64 exec, exec, s[20:21]
	v_cmp_ne_u32_e32 vcc, 0, v0
	s_xor_b64 s[20:21], s[18:19], -1
	s_and_b64 s[56:57], vcc, s[20:21]
	s_and_saveexec_b64 s[20:21], s[56:57]
	s_cbranch_execz .LBB8_653
; %bb.652:                              ;   in Loop: Header=BB8_49 Depth=1
	buffer_load_dword v0, off, s[0:3], s33 offset:216 ; 4-byte Folded Reload
	buffer_load_dword v1, off, s[0:3], s33 offset:220 ; 4-byte Folded Reload
	s_waitcnt vmcnt(0)
	flat_store_dword v[0:1], v26
.LBB8_653:                              ;   in Loop: Header=BB8_49 Depth=1
	s_or_b64 exec, exec, s[20:21]
	v_and_b32_e32 v0, 48, v27
	v_cmp_ne_u32_e32 vcc, 0, v0
	s_and_saveexec_b64 s[20:21], vcc
	s_cbranch_execz .LBB8_47
; %bb.654:                              ;   in Loop: Header=BB8_49 Depth=1
	s_waitcnt vmcnt(0)
	v_add_co_u32_e32 v17, vcc, 1, v17
	v_addc_co_u32_e32 v18, vcc, 0, v18, vcc
	flat_store_dwordx2 v[40:41], v[17:18]
	s_branch .LBB8_47
.LBB8_655:
	s_or_b64 exec, exec, s[44:45]
	buffer_load_dword v21, off, s[0:3], s33 offset:276 ; 4-byte Folded Reload
	buffer_load_dword v31, off, s[0:3], s33 offset:280 ; 4-byte Folded Reload
	;; [unrolled: 1-line block ×9, first 2 shown]
.LBB8_656:
	s_or_b64 exec, exec, s[40:41]
                                        ; implicit-def: $vgpr0_vgpr1
                                        ; kill: killed $vgpr0_vgpr1
                                        ; implicit-def: $vgpr22_vgpr23
                                        ; implicit-def: $vgpr44_vgpr45
                                        ; implicit-def: $vgpr40_vgpr41
                                        ; implicit-def: $vgpr4
                                        ; implicit-def: $vgpr38
                                        ; implicit-def: $vgpr0
                                        ; kill: killed $vgpr0
                                        ; implicit-def: $vgpr0_vgpr1
                                        ; kill: killed $vgpr0_vgpr1
                                        ; implicit-def: $vgpr0
.LBB8_657:
	s_andn2_saveexec_b64 s[22:23], s[28:29]
	s_cbranch_execz .LBB8_1258
; %bb.658:
	v_mov_b32_e32 v1, 0
	v_cmp_ne_u64_e32 vcc, 0, v[22:23]
	v_mov_b32_e32 v2, 0
	buffer_store_dword v1, off, s[0:3], s33 offset:128 ; 4-byte Folded Spill
	s_nop 0
	buffer_store_dword v2, off, s[0:3], s33 offset:132 ; 4-byte Folded Spill
	s_and_saveexec_b64 s[28:29], vcc
	s_cbranch_execz .LBB8_1257
; %bb.659:
	s_waitcnt vmcnt(0)
	buffer_store_dword v24, off, s[0:3], s33 offset:288 ; 4-byte Folded Spill
	s_nop 0
	buffer_store_dword v25, off, s[0:3], s33 offset:292 ; 4-byte Folded Spill
	buffer_store_dword v54, off, s[0:3], s33 offset:136 ; 4-byte Folded Spill
	s_nop 0
	buffer_store_dword v55, off, s[0:3], s33 offset:140 ; 4-byte Folded Spill
	buffer_store_dword v56, off, s[0:3], s33 offset:144 ; 4-byte Folded Spill
	;; [unrolled: 1-line block ×3, first 2 shown]
	v_and_b32_e32 v1, 63, v31
	v_cmp_eq_u32_e64 s[12:13], 0, v1
	v_ashrrev_i32_e32 v1, 31, v0
	v_lshrrev_b32_e32 v1, 26, v1
	s_lshr_b32 s6, s30, 27
	v_add_u32_e32 v1, v0, v1
	s_add_i32 s6, s30, s6
	v_ashrrev_i32_e32 v26, 6, v1
	v_and_b32_e32 v1, 0xffffffc0, v1
	s_ashr_i32 s94, s6, 5
	v_cmp_ge_i32_e64 s[6:7], v0, v21
	v_sub_u32_e32 v0, v0, v1
	s_trap 2
	v_cmp_le_i32_e64 s[14:15], v0, v4
	v_cmp_gt_i32_e64 s[16:17], 1, v0
	buffer_store_dword v0, off, s[0:3], s33 offset:260 ; 4-byte Folded Spill
	v_lshlrev_b32_e32 v0, 4, v0
	v_lshl_add_u32 v0, v26, 11, v0
	buffer_store_dword v0, off, s[0:3], s33 offset:268 ; 4-byte Folded Spill
	v_ashrrev_i32_e32 v0, 31, v0
	v_lshrrev_b32_e32 v2, 6, v21
	buffer_store_dword v0, off, s[0:3], s33 offset:272 ; 4-byte Folded Spill
	v_mov_b32_e32 v0, 0xfffff800
	v_lshl_add_u32 v0, v2, 11, v0
	s_movk_i32 s18, 0x800
	v_ashrrev_i32_e32 v1, 31, v0
	buffer_store_dword v0, off, s[0:3], s33 offset:208 ; 4-byte Folded Spill
	v_add_co_u32_e64 v0, s[18:19], s18, v0
	buffer_store_dword v8, off, s[0:3], s33 offset:284 ; 4-byte Folded Spill
	buffer_store_dword v31, off, s[0:3], s33 offset:280 ; 4-byte Folded Spill
	buffer_store_dword v21, off, s[0:3], s33 offset:276 ; 4-byte Folded Spill
	buffer_store_dword v0, off, s[0:3], s33 offset:152 ; 4-byte Folded Spill
	buffer_store_dword v1, off, s[0:3], s33 offset:216 ; 4-byte Folded Spill
	v_addc_co_u32_e64 v0, s[18:19], 0, v1, s[18:19]
	s_lshr_b32 s18, s33, 6
	v_lshlrev_b32_e32 v28, 10, v2
	buffer_store_dword v0, off, s[0:3], s33 offset:172 ; 4-byte Folded Spill
	s_add_i32 s95, s18, 0x70
	s_lshr_b32 s18, s33, 6
	v_add_u32_e32 v0, 0xfffffc00, v28
	s_movk_i32 s34, 0x400
	s_add_i32 s31, s18, 0x50
	v_ashrrev_i32_e32 v1, 31, v0
	v_add_co_u32_e64 v55, s[18:19], s34, v0
	v_addc_co_u32_e64 v54, s[18:19], 0, v1, s[18:19]
	v_lshlrev_b32_e32 v32, 7, v2
	v_add_u32_e32 v35, 0xffffff80, v32
	s_movk_i32 s18, 0x80
	v_cmp_eq_u32_e32 vcc, 64, v21
	buffer_store_dword v0, off, s[0:3], s33 offset:180 ; 4-byte Folded Spill
	buffer_store_dword v1, off, s[0:3], s33 offset:188 ; 4-byte Folded Spill
	v_ashrrev_i32_e32 v37, 31, v35
	v_add_co_u32_e64 v48, s[18:19], s18, v35
	v_mov_b32_e32 v58, 0
	v_mov_b32_e32 v0, 0
	v_cmp_ne_u32_e64 s[10:11], 64, v21
	v_cmp_ne_u32_sdwa s[40:41], v21, v8 src0_sel:DWORD src1_sel:WORD_0
	v_mov_b32_e32 v3, 0
	v_mov_b32_e32 v30, v2
	v_addc_co_u32_e64 v49, s[18:19], 0, v37, s[18:19]
	s_mov_b64 s[42:43], 0
	v_mov_b32_e32 v59, 0
	v_mov_b32_e32 v1, 0
	s_xor_b64 s[44:45], vcc, -1
	s_mov_b32 s35, 0x7f800000
	s_movk_i32 s36, 0x7fff
	s_mov_b32 s37, 0xffff0000
	buffer_store_dword v0, off, s[0:3], s33 offset:128 ; 4-byte Folded Spill
	s_nop 0
	buffer_store_dword v1, off, s[0:3], s33 offset:132 ; 4-byte Folded Spill
	buffer_store_dword v38, off, s[0:3], s33 offset:192 ; 4-byte Folded Spill
	s_nop 0
	buffer_store_dword v39, off, s[0:3], s33 offset:196 ; 4-byte Folded Spill
	buffer_store_dword v26, off, s[0:3], s33 offset:296 ; 4-byte Folded Spill
	;; [unrolled: 1-line block ×9, first 2 shown]
	s_nop 0
	buffer_store_dword v23, off, s[0:3], s33 offset:160 ; 4-byte Folded Spill
	buffer_store_dword v24, off, s[0:3], s33 offset:164 ; 4-byte Folded Spill
	;; [unrolled: 1-line block ×3, first 2 shown]
	s_branch .LBB8_662
.LBB8_660:                              ;   in Loop: Header=BB8_662 Depth=1
	s_or_b64 exec, exec, s[18:19]
.LBB8_661:                              ;   in Loop: Header=BB8_662 Depth=1
	s_or_b64 exec, exec, s[20:21]
	buffer_load_dword v22, off, s[0:3], s33 offset:156 ; 4-byte Folded Reload
	buffer_load_dword v23, off, s[0:3], s33 offset:160 ; 4-byte Folded Reload
	;; [unrolled: 1-line block ×4, first 2 shown]
	s_waitcnt vmcnt(0)
	v_add_co_u32_e32 v58, vcc, v58, v38
	v_addc_co_u32_e32 v59, vcc, 0, v59, vcc
	v_cmp_ge_u64_e32 vcc, v[58:59], v[22:23]
	s_or_b64 s[42:43], vcc, s[42:43]
	s_andn2_b64 exec, exec, s[42:43]
	s_cbranch_execz .LBB8_1256
.LBB8_662:                              ; =>This Loop Header: Depth=1
                                        ;     Child Loop BB8_671 Depth 2
                                        ;     Child Loop BB8_695 Depth 2
	;; [unrolled: 1-line block ×5, first 2 shown]
                                        ;       Child Loop BB8_944 Depth 3
                                        ;       Child Loop BB8_981 Depth 3
                                        ;     Child Loop BB8_1058 Depth 2
                                        ;     Child Loop BB8_1165 Depth 2
                                        ;       Child Loop BB8_1166 Depth 3
                                        ;       Child Loop BB8_1175 Depth 3
                                        ;     Child Loop BB8_1194 Depth 2
                                        ;     Child Loop BB8_1217 Depth 2
	;; [unrolled: 1-line block ×3, first 2 shown]
	v_sub_co_u32_e32 v0, vcc, v22, v58
	v_subb_co_u32_e32 v1, vcc, v23, v59, vcc
	v_cmp_lt_u64_e32 vcc, v[38:39], v[0:1]
	v_mov_b32_e32 v10, 0
	v_cndmask_b32_e64 v61, v1, 0, vcc
	v_cndmask_b32_e32 v60, v0, v38, vcc
	v_cmp_eq_u64_e32 vcc, 0, v[60:61]
	v_add_u32_e32 v0, 15, v60
	v_and_b32_e32 v0, 0x3ffffff0, v0
	s_or_b64 s[46:47], s[6:7], vcc
	v_max_i32_e32 v50, s94, v0
	s_xor_b64 s[18:19], s[46:47], -1
	s_and_saveexec_b64 s[56:57], s[18:19]
	s_cbranch_execz .LBB8_1210
; %bb.663:                              ;   in Loop: Header=BB8_662 Depth=1
	s_and_saveexec_b64 s[18:19], s[4:5]
	s_cbranch_execz .LBB8_665
; %bb.664:                              ;   in Loop: Header=BB8_662 Depth=1
	s_trap 2
	ds_read2_b64 v[4:7], v0 offset1:1
	buffer_load_dword v0, off, s[0:3], s33 offset:224 ; 4-byte Folded Reload
	buffer_load_dword v1, off, s[0:3], s33 offset:228 ; 4-byte Folded Reload
	s_waitcnt vmcnt(0)
	v_add_co_u32_e32 v0, vcc, v58, v0
	v_addc_co_u32_e32 v1, vcc, v59, v1, vcc
	v_lshlrev_b64 v[0:1], 1, v[0:1]
	ds_read_b64 v[8:9], v0
	s_waitcnt lgkmcnt(0)
	v_add_co_u32_e32 v4, vcc, v4, v0
	v_addc_co_u32_e32 v5, vcc, v5, v1, vcc
	ds_write_b64 v0, v[4:5]
	v_add_co_u32_e32 v4, vcc, v6, v0
	v_addc_co_u32_e32 v5, vcc, v7, v1, vcc
	ds_write_b64 v0, v[4:5]
	v_add_co_u32_e32 v0, vcc, v8, v0
	v_addc_co_u32_e32 v1, vcc, v9, v1, vcc
	v_cmp_ne_u64_e32 vcc, 0, v[8:9]
	v_cndmask_b32_e32 v1, 0, v1, vcc
	v_cndmask_b32_e32 v0, 0, v0, vcc
	ds_write_b64 v0, v[0:1]
.LBB8_665:                              ;   in Loop: Header=BB8_662 Depth=1
	s_or_b64 exec, exec, s[18:19]
	v_and_b32_e32 v0, 4, v27
	v_cmp_ne_u32_e32 vcc, 0, v0
	s_and_saveexec_b64 s[20:21], vcc
	s_cbranch_execz .LBB8_687
; %bb.666:                              ;   in Loop: Header=BB8_662 Depth=1
	buffer_load_dword v4, off, s[0:3], s33 offset:136 ; 4-byte Folded Reload
	buffer_load_dword v5, off, s[0:3], s33 offset:140 ; 4-byte Folded Reload
	;; [unrolled: 1-line block ×4, first 2 shown]
	s_waitcnt vmcnt(0)
	v_add_co_u32_e32 v0, vcc, 1, v6
	v_addc_co_u32_e32 v1, vcc, 0, v7, vcc
	v_cmp_lt_u64_e32 vcc, v[44:45], v[0:1]
	s_and_saveexec_b64 s[58:59], vcc
	s_cbranch_execz .LBB8_678
; %bb.667:                              ;   in Loop: Header=BB8_662 Depth=1
	v_and_b32_e32 v2, 64, v27
	s_mov_b32 s38, 0
	v_cmp_eq_u32_e32 vcc, 0, v2
	s_mov_b64 s[60:61], 0
                                        ; implicit-def: $sgpr62_sgpr63
                                        ; implicit-def: $sgpr72_sgpr73
                                        ; implicit-def: $sgpr74_sgpr75
	s_branch .LBB8_671
.LBB8_668:                              ;   in Loop: Header=BB8_671 Depth=2
	s_waitcnt vmcnt(0) lgkmcnt(0)
	v_cmp_ge_u64_e64 s[18:19], v[44:45], v[0:1]
	s_or_b64 s[88:89], s[88:89], exec
	s_orn2_b64 s[78:79], s[18:19], exec
.LBB8_669:                              ;   in Loop: Header=BB8_671 Depth=2
	s_or_b64 exec, exec, s[92:93]
	s_andn2_b64 s[18:19], s[74:75], exec
	s_and_b64 s[74:75], s[88:89], exec
	s_or_b64 s[74:75], s[18:19], s[74:75]
	s_andn2_b64 s[18:19], s[72:73], exec
	s_and_b64 s[72:73], s[78:79], exec
	s_or_b64 s[72:73], s[18:19], s[72:73]
.LBB8_670:                              ;   in Loop: Header=BB8_671 Depth=2
	s_or_b64 exec, exec, s[76:77]
	s_and_b64 s[18:19], exec, s[72:73]
	s_or_b64 s[60:61], s[18:19], s[60:61]
	s_andn2_b64 s[18:19], s[62:63], exec
	s_and_b64 s[62:63], s[74:75], exec
	s_or_b64 s[62:63], s[18:19], s[62:63]
	s_andn2_b64 exec, exec, s[60:61]
	s_cbranch_execz .LBB8_675
.LBB8_671:                              ;   Parent Loop BB8_662 Depth=1
                                        ; =>  This Inner Loop Header: Depth=2
	s_sleep 1
	s_waitcnt vmcnt(0) lgkmcnt(0)
	flat_load_dwordx2 v[44:45], v[40:41] glc
	s_or_b64 s[74:75], s[74:75], exec
	s_or_b64 s[72:73], s[72:73], exec
                                        ; implicit-def: $vgpr2
	s_and_saveexec_b64 s[76:77], vcc
	s_cbranch_execz .LBB8_670
; %bb.672:                              ;   in Loop: Header=BB8_671 Depth=2
	s_cmpk_lt_i32 s38, 0x270f
	s_cselect_b64 s[90:91], -1, 0
	s_cmpk_gt_i32 s38, 0x270e
	s_mov_b64 s[78:79], -1
	s_cbranch_scc0 .LBB8_674
; %bb.673:                              ;   in Loop: Header=BB8_671 Depth=2
	s_trap 2
	ds_read_b64 v[4:5], v0
	s_andn2_b64 s[90:91], s[90:91], exec
	s_mov_b32 s38, 0
	s_mov_b64 s[88:89], 0
	s_waitcnt vmcnt(0) lgkmcnt(0)
	flat_load_dword v2, v[4:5] glc
	s_waitcnt vmcnt(0) lgkmcnt(0)
	buffer_wbinvl1_vol
	v_cmp_eq_u32_e64 s[18:19], 0, v2
	s_and_b64 s[18:19], s[18:19], exec
	s_or_b64 s[90:91], s[90:91], s[18:19]
	s_and_saveexec_b64 s[92:93], s[90:91]
	s_cbranch_execz .LBB8_669
	s_branch .LBB8_668
.LBB8_674:                              ;   in Loop: Header=BB8_671 Depth=2
	s_add_i32 s38, s38, 1
	s_mov_b64 s[88:89], -1
                                        ; implicit-def: $vgpr2
	s_and_saveexec_b64 s[92:93], s[90:91]
	s_cbranch_execz .LBB8_669
	s_branch .LBB8_668
.LBB8_675:                              ;   in Loop: Header=BB8_662 Depth=1
	s_or_b64 exec, exec, s[60:61]
	s_xor_b64 s[18:19], s[62:63], -1
	s_and_saveexec_b64 s[60:61], s[18:19]
	s_xor_b64 s[18:19], exec, s[60:61]
	s_cbranch_execz .LBB8_677
; %bb.676:                              ;   in Loop: Header=BB8_662 Depth=1
	v_or_b32_e32 v27, 64, v27
	s_waitcnt lgkmcnt(0)
	ds_write_b32 v0, v2
	s_trap 2
.LBB8_677:                              ;   in Loop: Header=BB8_662 Depth=1
	s_or_b64 exec, exec, s[18:19]
.LBB8_678:                              ;   in Loop: Header=BB8_662 Depth=1
	s_or_b64 exec, exec, s[58:59]
	;;#ASMSTART
	s_wakeup
	;;#ASMEND
	buffer_load_dword v4, off, s[0:3], s33 offset:136 ; 4-byte Folded Reload
	buffer_load_dword v5, off, s[0:3], s33 offset:140 ; 4-byte Folded Reload
	;; [unrolled: 1-line block ×4, first 2 shown]
	v_and_b32_e32 v2, 0x100, v27
	v_cmp_ne_u32_e32 vcc, 0, v2
	s_mov_b64 s[18:19], -1
                                        ; implicit-def: $vgpr4_vgpr5
	s_waitcnt vmcnt(0)
	v_and_b32_e32 v2, 7, v6
	s_and_saveexec_b64 s[58:59], vcc
	s_cbranch_execz .LBB8_682
; %bb.679:                              ;   in Loop: Header=BB8_662 Depth=1
	buffer_load_dword v4, off, s[0:3], s33 offset:136 ; 4-byte Folded Reload
	buffer_load_dword v5, off, s[0:3], s33 offset:140 ; 4-byte Folded Reload
	;; [unrolled: 1-line block ×4, first 2 shown]
	s_waitcnt vmcnt(0)
	v_mad_u64_u32 v[8:9], s[18:19], v2, 24, v[4:5]
	flat_load_dword v4, v[8:9]
	s_waitcnt vmcnt(0) lgkmcnt(0)
	v_cmp_ne_u32_e32 vcc, 1, v4
	v_cmp_eq_u32_e64 s[18:19], 1, v4
                                        ; implicit-def: $vgpr4_vgpr5
	s_and_saveexec_b64 s[60:61], s[18:19]
	s_cbranch_execz .LBB8_681
; %bb.680:                              ;   in Loop: Header=BB8_662 Depth=1
	flat_load_dword v4, v[8:9] offset:4 glc
	s_waitcnt vmcnt(0) lgkmcnt(0)
	v_ashrrev_i32_e32 v5, 31, v4
	v_lshrrev_b64 v[4:5], 1, v[4:5]
.LBB8_681:                              ;   in Loop: Header=BB8_662 Depth=1
	s_or_b64 exec, exec, s[60:61]
	s_orn2_b64 s[18:19], vcc, exec
.LBB8_682:                              ;   in Loop: Header=BB8_662 Depth=1
	s_or_b64 exec, exec, s[58:59]
	s_and_saveexec_b64 s[58:59], s[18:19]
	s_cbranch_execz .LBB8_684
; %bb.683:                              ;   in Loop: Header=BB8_662 Depth=1
	buffer_load_dword v4, off, s[0:3], s33 offset:232 ; 4-byte Folded Reload
	s_waitcnt vmcnt(0)
	v_mad_i64_i32 v[4:5], s[18:19], v2, v4, 0
.LBB8_684:                              ;   in Loop: Header=BB8_662 Depth=1
	s_or_b64 exec, exec, s[58:59]
	buffer_load_dword v6, off, s[0:3], s33 offset:200 ; 4-byte Folded Reload
	buffer_load_dword v7, off, s[0:3], s33 offset:204 ; 4-byte Folded Reload
	v_lshlrev_b64 v[4:5], 1, v[4:5]
	v_and_b32_e32 v2, 0x2000, v27
	s_waitcnt vmcnt(0)
	v_add_co_u32_e32 v4, vcc, v6, v4
	v_addc_co_u32_e32 v5, vcc, v7, v5, vcc
	v_cmp_ne_u32_e32 vcc, 0, v2
	ds_write_b64 v0, v[4:5] offset:728
	s_and_saveexec_b64 s[18:19], vcc
	s_cbranch_execz .LBB8_686
; %bb.685:                              ;   in Loop: Header=BB8_662 Depth=1
	ds_read_b64 v[4:5], v0 offset:872
	s_waitcnt lgkmcnt(0)
	v_add_co_u32_e32 v4, vcc, 1, v4
	v_addc_co_u32_e32 v5, vcc, 0, v5, vcc
	ds_write_b64 v0, v[4:5] offset:872
.LBB8_686:                              ;   in Loop: Header=BB8_662 Depth=1
	s_or_b64 exec, exec, s[18:19]
	buffer_load_dword v4, off, s[0:3], s33 offset:136 ; 4-byte Folded Reload
	buffer_load_dword v5, off, s[0:3], s33 offset:140 ; 4-byte Folded Reload
	;; [unrolled: 1-line block ×4, first 2 shown]
	s_waitcnt vmcnt(0)
	v_mov_b32_e32 v7, v1
	v_mov_b32_e32 v6, v0
	buffer_store_dword v4, off, s[0:3], s33 offset:136 ; 4-byte Folded Spill
	s_nop 0
	buffer_store_dword v5, off, s[0:3], s33 offset:140 ; 4-byte Folded Spill
	buffer_store_dword v6, off, s[0:3], s33 offset:144 ; 4-byte Folded Spill
	;; [unrolled: 1-line block ×3, first 2 shown]
.LBB8_687:                              ;   in Loop: Header=BB8_662 Depth=1
	s_or_b64 exec, exec, s[20:21]
	s_and_saveexec_b64 s[18:19], s[10:11]
	s_cbranch_execz .LBB8_706
; %bb.688:                              ;   in Loop: Header=BB8_662 Depth=1
	s_and_saveexec_b64 s[20:21], s[40:41]
	s_xor_b64 s[20:21], exec, s[20:21]
	s_cbranch_execz .LBB8_703
; %bb.689:                              ;   in Loop: Header=BB8_662 Depth=1
	s_and_saveexec_b64 s[58:59], s[12:13]
	s_cbranch_execz .LBB8_702
; %bb.690:                              ;   in Loop: Header=BB8_662 Depth=1
	s_mov_b64 s[62:63], exec
	v_mbcnt_lo_u32_b32 v0, s62, 0
	v_mbcnt_hi_u32_b32 v0, s63, v0
	v_cmp_eq_u32_e32 vcc, 0, v0
	s_waitcnt vmcnt(0) lgkmcnt(0)
	buffer_wbinvl1_vol
	s_and_saveexec_b64 s[60:61], vcc
	s_cbranch_execz .LBB8_692
; %bb.691:                              ;   in Loop: Header=BB8_662 Depth=1
	s_bcnt1_i32_b64 s62, s[62:63]
	v_mov_b32_e32 v2, s62
	ds_add_u64 v0, v[2:3]
	s_trap 2
.LBB8_692:                              ;   in Loop: Header=BB8_662 Depth=1
	s_or_b64 exec, exec, s[60:61]
	s_trap 2
	ds_read_b64 v[0:1], v0
	s_waitcnt lgkmcnt(0)
	buffer_load_dword v4, off, s[0:3], s33 offset:128 ; 4-byte Folded Reload
	buffer_load_dword v5, off, s[0:3], s33 offset:132 ; 4-byte Folded Reload
	s_waitcnt vmcnt(1)
	v_add_co_u32_e32 v4, vcc, v4, v30
	s_waitcnt vmcnt(0)
	v_addc_co_u32_e32 v5, vcc, 0, v5, vcc
	buffer_store_dword v4, off, s[0:3], s33 offset:128 ; 4-byte Folded Spill
	s_nop 0
	buffer_store_dword v5, off, s[0:3], s33 offset:132 ; 4-byte Folded Spill
	v_cmp_lt_u64_e32 vcc, v[0:1], v[4:5]
	s_and_saveexec_b64 s[60:61], vcc
	s_cbranch_execz .LBB8_701
; %bb.693:                              ;   in Loop: Header=BB8_662 Depth=1
	s_mov_b32 s90, 0
	s_mov_b64 s[62:63], 0
                                        ; implicit-def: $sgpr72_sgpr73
                                        ; implicit-def: $sgpr74_sgpr75
	s_branch .LBB8_695
.LBB8_694:                              ;   in Loop: Header=BB8_695 Depth=2
	s_or_b64 exec, exec, s[78:79]
	s_and_b64 s[76:77], exec, s[88:89]
	s_or_b64 s[62:63], s[76:77], s[62:63]
	s_andn2_b64 s[72:73], s[72:73], exec
	s_and_b64 s[76:77], s[74:75], exec
	s_or_b64 s[72:73], s[72:73], s[76:77]
	s_andn2_b64 exec, exec, s[62:63]
	s_cbranch_execz .LBB8_699
.LBB8_695:                              ;   Parent Loop BB8_662 Depth=1
                                        ; =>  This Inner Loop Header: Depth=2
	s_add_i32 s90, s90, 1
	s_cmpk_lg_i32 s90, 0x2710
	s_cselect_b64 s[76:77], -1, 0
	s_and_b64 vcc, exec, s[76:77]
	s_cbranch_vccz .LBB8_697
; %bb.696:                              ;   in Loop: Header=BB8_695 Depth=2
	s_mov_b64 s[88:89], -1
	s_or_b64 s[74:75], s[74:75], exec
	s_and_saveexec_b64 s[78:79], s[76:77]
	s_cbranch_execz .LBB8_694
	s_branch .LBB8_698
.LBB8_697:                              ;   in Loop: Header=BB8_695 Depth=2
	s_trap 2
	ds_read_b64 v[0:1], v0
	s_andn2_b64 s[76:77], s[76:77], exec
	s_mov_b32 s90, 0
	s_waitcnt vmcnt(0) lgkmcnt(0)
	flat_load_dword v0, v[0:1] glc
	s_waitcnt vmcnt(0) lgkmcnt(0)
	buffer_wbinvl1_vol
	v_cmp_eq_u32_e32 vcc, 0, v0
	s_and_b64 s[78:79], vcc, exec
	s_or_b64 s[76:77], s[76:77], s[78:79]
	s_mov_b64 s[88:89], -1
	s_or_b64 s[74:75], s[74:75], exec
	s_and_saveexec_b64 s[78:79], s[76:77]
	s_cbranch_execz .LBB8_694
.LBB8_698:                              ;   in Loop: Header=BB8_695 Depth=2
	s_sleep 1
	s_trap 2
	ds_read_b64 v[0:1], v0
	s_waitcnt lgkmcnt(0)
	buffer_load_dword v4, off, s[0:3], s33 offset:128 ; 4-byte Folded Reload
	buffer_load_dword v5, off, s[0:3], s33 offset:132 ; 4-byte Folded Reload
	s_andn2_b64 s[74:75], s[74:75], exec
	s_waitcnt vmcnt(0)
	v_cmp_ge_u64_e32 vcc, v[0:1], v[4:5]
	s_orn2_b64 s[88:89], vcc, exec
	s_branch .LBB8_694
.LBB8_699:                              ;   in Loop: Header=BB8_662 Depth=1
	s_or_b64 exec, exec, s[62:63]
	s_and_saveexec_b64 s[62:63], s[72:73]
	s_xor_b64 s[62:63], exec, s[62:63]
	s_cbranch_execz .LBB8_701
; %bb.700:                              ;   in Loop: Header=BB8_662 Depth=1
	v_mov_b32_e32 v0, 1
	ds_write_b32 v0, v0
	s_trap 2
.LBB8_701:                              ;   in Loop: Header=BB8_662 Depth=1
	s_or_b64 exec, exec, s[60:61]
	;;#ASMSTART
	s_wakeup
	;;#ASMEND
.LBB8_702:                              ;   in Loop: Header=BB8_662 Depth=1
	s_or_b64 exec, exec, s[58:59]
.LBB8_703:                              ;   in Loop: Header=BB8_662 Depth=1
	s_andn2_saveexec_b64 s[20:21], s[20:21]
	s_cbranch_execz .LBB8_705
; %bb.704:                              ;   in Loop: Header=BB8_662 Depth=1
	s_waitcnt vmcnt(0) lgkmcnt(0)
	buffer_wbinvl1_vol
	s_barrier
.LBB8_705:                              ;   in Loop: Header=BB8_662 Depth=1
	s_or_b64 exec, exec, s[20:21]
.LBB8_706:                              ;   in Loop: Header=BB8_662 Depth=1
	s_or_b64 exec, exec, s[18:19]
	s_trap 2
	ds_read_b32 v0, v0
	v_and_b32_e32 v1, 0x4000, v27
	v_cmp_ne_u32_e32 vcc, 0, v1
	s_and_b64 s[20:21], s[44:45], vcc
	s_and_saveexec_b64 s[18:19], s[20:21]
	s_cbranch_execz .LBB8_725
; %bb.707:                              ;   in Loop: Header=BB8_662 Depth=1
	s_and_saveexec_b64 s[20:21], s[40:41]
	s_xor_b64 s[20:21], exec, s[20:21]
	s_cbranch_execz .LBB8_722
; %bb.708:                              ;   in Loop: Header=BB8_662 Depth=1
	s_and_saveexec_b64 s[58:59], s[12:13]
	s_cbranch_execz .LBB8_721
; %bb.709:                              ;   in Loop: Header=BB8_662 Depth=1
	s_mov_b64 s[62:63], exec
	v_mbcnt_lo_u32_b32 v1, s62, 0
	v_mbcnt_hi_u32_b32 v1, s63, v1
	v_cmp_eq_u32_e32 vcc, 0, v1
	s_waitcnt vmcnt(0) lgkmcnt(0)
	buffer_wbinvl1_vol
	s_and_saveexec_b64 s[60:61], vcc
	s_cbranch_execz .LBB8_711
; %bb.710:                              ;   in Loop: Header=BB8_662 Depth=1
	s_bcnt1_i32_b64 s62, s[62:63]
	v_mov_b32_e32 v2, s62
	ds_add_u64 v0, v[2:3]
	s_trap 2
.LBB8_711:                              ;   in Loop: Header=BB8_662 Depth=1
	s_or_b64 exec, exec, s[60:61]
	s_trap 2
	ds_read_b64 v[1:2], v0
	s_waitcnt lgkmcnt(0)
	buffer_load_dword v4, off, s[0:3], s33 offset:128 ; 4-byte Folded Reload
	buffer_load_dword v5, off, s[0:3], s33 offset:132 ; 4-byte Folded Reload
	s_waitcnt vmcnt(1)
	v_add_co_u32_e32 v4, vcc, v4, v30
	s_waitcnt vmcnt(0)
	v_addc_co_u32_e32 v5, vcc, 0, v5, vcc
	buffer_store_dword v4, off, s[0:3], s33 offset:128 ; 4-byte Folded Spill
	s_nop 0
	buffer_store_dword v5, off, s[0:3], s33 offset:132 ; 4-byte Folded Spill
	v_cmp_lt_u64_e32 vcc, v[1:2], v[4:5]
	s_and_saveexec_b64 s[60:61], vcc
	s_cbranch_execz .LBB8_720
; %bb.712:                              ;   in Loop: Header=BB8_662 Depth=1
	s_mov_b32 s90, 0
	s_mov_b64 s[62:63], 0
                                        ; implicit-def: $sgpr72_sgpr73
                                        ; implicit-def: $sgpr74_sgpr75
	s_branch .LBB8_714
.LBB8_713:                              ;   in Loop: Header=BB8_714 Depth=2
	s_or_b64 exec, exec, s[78:79]
	s_and_b64 s[76:77], exec, s[88:89]
	s_or_b64 s[62:63], s[76:77], s[62:63]
	s_andn2_b64 s[72:73], s[72:73], exec
	s_and_b64 s[76:77], s[74:75], exec
	s_or_b64 s[72:73], s[72:73], s[76:77]
	s_andn2_b64 exec, exec, s[62:63]
	s_cbranch_execz .LBB8_718
.LBB8_714:                              ;   Parent Loop BB8_662 Depth=1
                                        ; =>  This Inner Loop Header: Depth=2
	s_add_i32 s90, s90, 1
	s_cmpk_lg_i32 s90, 0x2710
	s_cselect_b64 s[76:77], -1, 0
	s_and_b64 vcc, exec, s[76:77]
	s_cbranch_vccz .LBB8_716
; %bb.715:                              ;   in Loop: Header=BB8_714 Depth=2
	s_mov_b64 s[88:89], -1
	s_or_b64 s[74:75], s[74:75], exec
	s_and_saveexec_b64 s[78:79], s[76:77]
	s_cbranch_execz .LBB8_713
	s_branch .LBB8_717
.LBB8_716:                              ;   in Loop: Header=BB8_714 Depth=2
	s_trap 2
	ds_read_b64 v[1:2], v0
	s_andn2_b64 s[76:77], s[76:77], exec
	s_mov_b32 s90, 0
	s_waitcnt vmcnt(0) lgkmcnt(0)
	flat_load_dword v1, v[1:2] glc
	s_waitcnt vmcnt(0) lgkmcnt(0)
	buffer_wbinvl1_vol
	v_cmp_eq_u32_e32 vcc, 0, v1
	s_and_b64 s[78:79], vcc, exec
	s_or_b64 s[76:77], s[76:77], s[78:79]
	s_mov_b64 s[88:89], -1
	s_or_b64 s[74:75], s[74:75], exec
	s_and_saveexec_b64 s[78:79], s[76:77]
	s_cbranch_execz .LBB8_713
.LBB8_717:                              ;   in Loop: Header=BB8_714 Depth=2
	s_sleep 1
	s_trap 2
	ds_read_b64 v[1:2], v0
	s_waitcnt lgkmcnt(0)
	buffer_load_dword v4, off, s[0:3], s33 offset:128 ; 4-byte Folded Reload
	buffer_load_dword v5, off, s[0:3], s33 offset:132 ; 4-byte Folded Reload
	s_andn2_b64 s[74:75], s[74:75], exec
	s_waitcnt vmcnt(0)
	v_cmp_ge_u64_e32 vcc, v[1:2], v[4:5]
	s_orn2_b64 s[88:89], vcc, exec
	s_branch .LBB8_713
.LBB8_718:                              ;   in Loop: Header=BB8_662 Depth=1
	s_or_b64 exec, exec, s[62:63]
	s_and_saveexec_b64 s[62:63], s[72:73]
	s_xor_b64 s[62:63], exec, s[62:63]
	s_cbranch_execz .LBB8_720
; %bb.719:                              ;   in Loop: Header=BB8_662 Depth=1
	v_mov_b32_e32 v1, 1
	ds_write_b32 v0, v1
	s_trap 2
.LBB8_720:                              ;   in Loop: Header=BB8_662 Depth=1
	s_or_b64 exec, exec, s[60:61]
	;;#ASMSTART
	s_wakeup
	;;#ASMEND
.LBB8_721:                              ;   in Loop: Header=BB8_662 Depth=1
	s_or_b64 exec, exec, s[58:59]
.LBB8_722:                              ;   in Loop: Header=BB8_662 Depth=1
	s_andn2_saveexec_b64 s[20:21], s[20:21]
	s_cbranch_execz .LBB8_724
; %bb.723:                              ;   in Loop: Header=BB8_662 Depth=1
	s_waitcnt vmcnt(0) lgkmcnt(0)
	buffer_wbinvl1_vol
	s_barrier
.LBB8_724:                              ;   in Loop: Header=BB8_662 Depth=1
	s_or_b64 exec, exec, s[20:21]
.LBB8_725:                              ;   in Loop: Header=BB8_662 Depth=1
	s_or_b64 exec, exec, s[18:19]
	s_trap 2
	s_waitcnt lgkmcnt(0)
	ds_read_b64 v[1:2], v0
	v_min_u32_e32 v50, v50, v60
	s_waitcnt lgkmcnt(0)
	buffer_store_dword v1, off, s[0:3], s33 offset:236 ; 4-byte Folded Spill
	s_nop 0
	buffer_store_dword v2, off, s[0:3], s33 offset:240 ; 4-byte Folded Spill
	v_cmp_eq_u64_e32 vcc, 0, v[1:2]
	s_cbranch_vccnz .LBB8_733
; %bb.726:                              ;   in Loop: Header=BB8_662 Depth=1
	s_trap 2
	ds_read_b64 v[1:2], v0
	s_waitcnt lgkmcnt(0)
	buffer_store_dword v1, off, s[0:3], s33 offset:244 ; 4-byte Folded Spill
	s_nop 0
	buffer_store_dword v2, off, s[0:3], s33 offset:248 ; 4-byte Folded Spill
	v_cmp_eq_u64_e32 vcc, 0, v[1:2]
	s_cbranch_vccnz .LBB8_733
; %bb.727:                              ;   in Loop: Header=BB8_662 Depth=1
	s_mov_b64 s[20:21], -1
	s_and_saveexec_b64 s[18:19], s[14:15]
	s_cbranch_execz .LBB8_729
; %bb.728:                              ;   in Loop: Header=BB8_662 Depth=1
	ds_read_b32 v1, v0 offset:720
	s_waitcnt lgkmcnt(0)
	v_and_b32_e32 v1, 15, v1
	v_cmp_eq_u32_e32 vcc, 0, v1
	s_orn2_b64 s[20:21], vcc, exec
.LBB8_729:                              ;   in Loop: Header=BB8_662 Depth=1
	s_or_b64 exec, exec, s[18:19]
	s_and_saveexec_b64 s[18:19], s[16:17]
	s_cbranch_execz .LBB8_731
; %bb.730:                              ;   in Loop: Header=BB8_662 Depth=1
	ds_read_b32 v1, v0 offset:784
	s_waitcnt lgkmcnt(0)
	v_and_b32_e32 v1, 15, v1
	v_cmp_eq_u32_e32 vcc, 0, v1
	s_and_b64 s[58:59], s[20:21], vcc
	s_andn2_b64 s[20:21], s[20:21], exec
	s_and_b64 s[58:59], s[58:59], exec
	s_or_b64 s[20:21], s[20:21], s[58:59]
.LBB8_731:                              ;   in Loop: Header=BB8_662 Depth=1
	s_or_b64 exec, exec, s[18:19]
	s_xor_b64 s[20:21], s[20:21], -1
	v_cmp_eq_u32_e64 s[18:19], 0, v0
	v_cndmask_b32_e64 v0, 0, 1, s[20:21]
	s_mov_b64 s[60:61], -1
	v_cmp_ne_u32_e32 vcc, 0, v0
	s_cbranch_vccz .LBB8_734
; %bb.732:                              ;   in Loop: Header=BB8_662 Depth=1
	s_mov_b64 s[60:61], 0
	s_mov_b64 s[58:59], -1
	s_branch .LBB8_735
.LBB8_733:                              ;   in Loop: Header=BB8_662 Depth=1
	s_mov_b64 s[18:19], 0
	s_and_saveexec_b64 s[20:21], s[10:11]
	s_cbranch_execnz .LBB8_1187
	s_branch .LBB8_1205
.LBB8_734:                              ;   in Loop: Header=BB8_662 Depth=1
	s_mov_b64 s[58:59], 0
.LBB8_735:                              ;   in Loop: Header=BB8_662 Depth=1
	v_cndmask_b32_e64 v51, 0, v50, s[18:19]
	v_lshlrev_b32_e32 v52, 1, v51
	s_andn2_b64 vcc, exec, s[60:61]
	v_mov_b32_e32 v15, 0
	s_cbranch_vccnz .LBB8_871
; %bb.736:                              ;   in Loop: Header=BB8_662 Depth=1
	buffer_load_dword v0, off, s[0:3], s33 offset:268 ; 4-byte Folded Reload
	buffer_load_dword v1, off, s[0:3], s33 offset:244 ; 4-byte Folded Reload
	;; [unrolled: 1-line block ×3, first 2 shown]
	v_lshrrev_b32_e32 v29, 10, v51
	v_sub_u32_e32 v47, v29, v26
	s_mov_b64 s[20:21], 0
                                        ; implicit-def: $vgpr22_vgpr23
                                        ; implicit-def: $vgpr14_vgpr15
                                        ; implicit-def: $vgpr18_vgpr19
                                        ; implicit-def: $vgpr10_vgpr11
	s_waitcnt vmcnt(1)
	v_add_co_u32_e32 v61, vcc, v1, v0
	buffer_load_dword v0, off, s[0:3], s33 offset:272 ; 4-byte Folded Reload
	s_waitcnt vmcnt(0)
	v_addc_co_u32_e32 v62, vcc, v2, v0, vcc
	v_cmp_lt_i32_e32 vcc, 0, v47
	s_and_saveexec_b64 s[18:19], vcc
	s_cbranch_execz .LBB8_873
; %bb.737:                              ;   in Loop: Header=BB8_662 Depth=1
	buffer_store_dword v29, off, s[0:3], s33 offset:332 ; 4-byte Folded Spill
	buffer_store_dword v52, off, s[0:3], s33 offset:252 ; 4-byte Folded Spill
	;; [unrolled: 1-line block ×4, first 2 shown]
	s_trap 2
	ds_read_b64 v[4:5], v0
	buffer_load_dword v2, off, s[0:3], s33 offset:268 ; 4-byte Folded Reload
	buffer_load_dword v0, off, s[0:3], s33 offset:236 ; 4-byte Folded Reload
	;; [unrolled: 1-line block ×4, first 2 shown]
	v_mov_b32_e32 v9, v27
	s_mov_b64 s[62:63], 0
                                        ; implicit-def: $sgpr60_sgpr61
                                        ; implicit-def: $vgpr22_vgpr23
                                        ; implicit-def: $vgpr14_vgpr15
                                        ; implicit-def: $vgpr18_vgpr19
                                        ; implicit-def: $vgpr10_vgpr11
	s_waitcnt vmcnt(2)
	v_add_co_u32_e32 v0, vcc, v0, v2
	s_waitcnt vmcnt(0)
	v_addc_co_u32_e32 v1, vcc, v1, v6, vcc
	s_waitcnt lgkmcnt(0)
	v_add_co_u32_e32 v52, vcc, v4, v2
	v_addc_co_u32_e32 v53, vcc, v5, v6, vcc
	s_branch .LBB8_739
.LBB8_738:                              ;   in Loop: Header=BB8_739 Depth=2
	s_or_b64 exec, exec, s[72:73]
	v_lshrrev_b32_e32 v8, 16, v48
	v_and_or_b32 v35, v2, s37, v8
	v_lshrrev_b32_e32 v2, 16, v56
	v_and_or_b32 v34, v36, s37, v2
	;; [unrolled: 2-line block ×8, first 2 shown]
	global_store_dwordx4 v[61:62], v[34:37], off glc slc
	global_store_dwordx4 v[61:62], v[26:29], off offset:1024 glc slc
	buffer_load_dword v5, off, s[0:3], s33 offset:208 ; 4-byte Folded Reload
	buffer_load_dword v6, off, s[0:3], s33 offset:216 ; 4-byte Folded Reload
	;; [unrolled: 1-line block ×3, first 2 shown]
	v_mov_b32_e32 v8, 0x800
	buffer_load_dword v26, off, s[0:3], s33 offset:152 ; 4-byte Folded Reload
	s_waitcnt vmcnt(3)
	v_add_co_u32_e32 v2, vcc, v0, v5
	s_waitcnt vmcnt(2)
	v_addc_co_u32_e32 v4, vcc, v1, v6, vcc
	v_add_co_u32_e32 v5, vcc, v52, v5
	v_addc_co_u32_e32 v6, vcc, v53, v6, vcc
	s_waitcnt vmcnt(0)
	v_cndmask_b32_e64 v8, v8, v26, s[62:63]
	v_cndmask_b32_e64 v7, 0, v7, s[62:63]
	v_add_co_u32_e32 v61, vcc, v61, v8
	v_cndmask_b32_e64 v0, v0, v2, s[62:63]
	v_cndmask_b32_e64 v2, 0, v30, s[62:63]
	v_addc_co_u32_e32 v62, vcc, v62, v7, vcc
	v_sub_u32_e32 v47, v47, v2
	v_cmp_gt_i32_e32 vcc, 1, v47
	s_or_b64 s[20:21], vcc, s[20:21]
	s_andn2_b64 s[60:61], s[60:61], exec
	s_and_b64 s[72:73], s[62:63], exec
	v_cndmask_b32_e64 v1, v1, v4, s[62:63]
	v_cndmask_b32_e64 v53, v53, v6, s[62:63]
	;; [unrolled: 1-line block ×3, first 2 shown]
	s_or_b64 s[60:61], s[60:61], s[72:73]
	s_andn2_b64 exec, exec, s[20:21]
	s_cbranch_execz .LBB8_872
.LBB8_739:                              ;   Parent Loop BB8_662 Depth=1
                                        ; =>  This Inner Loop Header: Depth=2
	global_load_dwordx4 v[36:39], v[0:1], off glc slc
	global_load_dwordx4 v[26:29], v[0:1], off offset:1024 glc slc
	global_load_dwordx4 v[48:51], v[52:53], off glc slc
	global_load_dwordx4 v[32:35], v[52:53], off offset:1024 glc slc
	s_and_saveexec_b64 s[72:73], s[62:63]
	s_cbranch_execz .LBB8_805
; %bb.740:                              ;   in Loop: Header=BB8_739 Depth=2
	v_lshlrev_b32_e32 v2, 16, v22
	v_lshlrev_b32_e32 v4, 16, v18
	v_add_f32_e32 v2, v2, v4
	v_and_b32_e32 v4, 0x7f800000, v2
	v_cmp_ne_u32_e32 vcc, s35, v4
                                        ; implicit-def: $vgpr56
	s_and_saveexec_b64 s[62:63], vcc
	s_xor_b64 s[62:63], exec, s[62:63]
; %bb.741:                              ;   in Loop: Header=BB8_739 Depth=2
	v_bfe_u32 v4, v2, 16, 1
	v_add3_u32 v56, v2, v4, s36
                                        ; implicit-def: $vgpr2
; %bb.742:                              ;   in Loop: Header=BB8_739 Depth=2
	s_andn2_saveexec_b64 s[62:63], s[62:63]
; %bb.743:                              ;   in Loop: Header=BB8_739 Depth=2
	v_or_b32_e32 v4, 0x10000, v2
	v_cmp_eq_u32_sdwa vcc, v2, v3 src0_sel:WORD_0 src1_sel:DWORD
	v_cndmask_b32_e32 v56, v4, v2, vcc
; %bb.744:                              ;   in Loop: Header=BB8_739 Depth=2
	s_or_b64 exec, exec, s[62:63]
	v_and_b32_e32 v2, 0xffff0000, v22
	v_and_b32_e32 v4, 0xffff0000, v18
	v_add_f32_e32 v2, v2, v4
	v_and_b32_e32 v4, 0x7f800000, v2
	v_cmp_ne_u32_e32 vcc, s35, v4
                                        ; implicit-def: $vgpr22
	s_and_saveexec_b64 s[62:63], vcc
	s_xor_b64 s[62:63], exec, s[62:63]
; %bb.745:                              ;   in Loop: Header=BB8_739 Depth=2
	v_bfe_u32 v4, v2, 16, 1
	v_add3_u32 v22, v2, v4, s36
                                        ; implicit-def: $vgpr2
; %bb.746:                              ;   in Loop: Header=BB8_739 Depth=2
	s_andn2_saveexec_b64 s[62:63], s[62:63]
; %bb.747:                              ;   in Loop: Header=BB8_739 Depth=2
	v_or_b32_e32 v4, 0x10000, v2
	v_cmp_eq_u32_sdwa vcc, v2, v3 src0_sel:WORD_0 src1_sel:DWORD
	v_cndmask_b32_e32 v22, v4, v2, vcc
; %bb.748:                              ;   in Loop: Header=BB8_739 Depth=2
	s_or_b64 exec, exec, s[62:63]
	v_lshlrev_b32_e32 v2, 16, v23
	v_lshlrev_b32_e32 v4, 16, v19
	v_add_f32_e32 v2, v2, v4
	v_and_b32_e32 v4, 0x7f800000, v2
	v_cmp_ne_u32_e32 vcc, s35, v4
                                        ; implicit-def: $vgpr46
	s_and_saveexec_b64 s[62:63], vcc
	s_xor_b64 s[62:63], exec, s[62:63]
; %bb.749:                              ;   in Loop: Header=BB8_739 Depth=2
	v_bfe_u32 v4, v2, 16, 1
	v_add3_u32 v46, v2, v4, s36
                                        ; implicit-def: $vgpr2
; %bb.750:                              ;   in Loop: Header=BB8_739 Depth=2
	s_andn2_saveexec_b64 s[62:63], s[62:63]
; %bb.751:                              ;   in Loop: Header=BB8_739 Depth=2
	v_or_b32_e32 v4, 0x10000, v2
	v_cmp_eq_u32_sdwa vcc, v2, v3 src0_sel:WORD_0 src1_sel:DWORD
	v_cndmask_b32_e32 v46, v4, v2, vcc
; %bb.752:                              ;   in Loop: Header=BB8_739 Depth=2
	s_or_b64 exec, exec, s[62:63]
	v_and_b32_e32 v2, 0xffff0000, v23
	v_and_b32_e32 v4, 0xffff0000, v19
	v_add_f32_e32 v4, v2, v4
	v_and_b32_e32 v2, 0x7f800000, v4
	v_cmp_ne_u32_e32 vcc, s35, v2
                                        ; implicit-def: $vgpr2
	s_and_saveexec_b64 s[62:63], vcc
	s_xor_b64 s[62:63], exec, s[62:63]
; %bb.753:                              ;   in Loop: Header=BB8_739 Depth=2
	v_bfe_u32 v2, v4, 16, 1
	v_add3_u32 v2, v4, v2, s36
                                        ; implicit-def: $vgpr4
; %bb.754:                              ;   in Loop: Header=BB8_739 Depth=2
	s_andn2_saveexec_b64 s[62:63], s[62:63]
; %bb.755:                              ;   in Loop: Header=BB8_739 Depth=2
	v_or_b32_e32 v2, 0x10000, v4
	v_cmp_eq_u32_sdwa vcc, v4, v3 src0_sel:WORD_0 src1_sel:DWORD
	v_cndmask_b32_e32 v2, v2, v4, vcc
; %bb.756:                              ;   in Loop: Header=BB8_739 Depth=2
	s_or_b64 exec, exec, s[62:63]
	v_lshlrev_b32_e32 v4, 16, v24
	v_lshlrev_b32_e32 v5, 16, v20
	v_add_f32_e32 v5, v4, v5
	v_and_b32_e32 v4, 0x7f800000, v5
	v_cmp_ne_u32_e32 vcc, s35, v4
                                        ; implicit-def: $vgpr4
	s_and_saveexec_b64 s[62:63], vcc
	s_xor_b64 s[62:63], exec, s[62:63]
; %bb.757:                              ;   in Loop: Header=BB8_739 Depth=2
	v_bfe_u32 v4, v5, 16, 1
	v_add3_u32 v4, v5, v4, s36
                                        ; implicit-def: $vgpr5
; %bb.758:                              ;   in Loop: Header=BB8_739 Depth=2
	s_andn2_saveexec_b64 s[62:63], s[62:63]
; %bb.759:                              ;   in Loop: Header=BB8_739 Depth=2
	v_or_b32_e32 v4, 0x10000, v5
	v_cmp_eq_u32_sdwa vcc, v5, v3 src0_sel:WORD_0 src1_sel:DWORD
	v_cndmask_b32_e32 v4, v4, v5, vcc
; %bb.760:                              ;   in Loop: Header=BB8_739 Depth=2
	s_or_b64 exec, exec, s[62:63]
	v_and_b32_e32 v5, 0xffff0000, v24
	v_and_b32_e32 v6, 0xffff0000, v20
	v_add_f32_e32 v6, v5, v6
	v_and_b32_e32 v5, 0x7f800000, v6
	v_cmp_ne_u32_e32 vcc, s35, v5
                                        ; implicit-def: $vgpr5
	s_and_saveexec_b64 s[62:63], vcc
	s_xor_b64 s[62:63], exec, s[62:63]
; %bb.761:                              ;   in Loop: Header=BB8_739 Depth=2
	v_bfe_u32 v5, v6, 16, 1
	v_add3_u32 v5, v6, v5, s36
                                        ; implicit-def: $vgpr6
; %bb.762:                              ;   in Loop: Header=BB8_739 Depth=2
	s_andn2_saveexec_b64 s[62:63], s[62:63]
; %bb.763:                              ;   in Loop: Header=BB8_739 Depth=2
	v_or_b32_e32 v5, 0x10000, v6
	v_cmp_eq_u32_sdwa vcc, v6, v3 src0_sel:WORD_0 src1_sel:DWORD
	v_cndmask_b32_e32 v5, v5, v6, vcc
; %bb.764:                              ;   in Loop: Header=BB8_739 Depth=2
	s_or_b64 exec, exec, s[62:63]
	v_lshlrev_b32_e32 v6, 16, v25
	v_lshlrev_b32_e32 v7, 16, v21
	v_add_f32_e32 v6, v6, v7
	v_and_b32_e32 v7, 0x7f800000, v6
	v_cmp_ne_u32_e32 vcc, s35, v7
                                        ; implicit-def: $vgpr43
	s_and_saveexec_b64 s[62:63], vcc
	s_xor_b64 s[62:63], exec, s[62:63]
; %bb.765:                              ;   in Loop: Header=BB8_739 Depth=2
	v_bfe_u32 v7, v6, 16, 1
	v_add3_u32 v43, v6, v7, s36
                                        ; implicit-def: $vgpr6
; %bb.766:                              ;   in Loop: Header=BB8_739 Depth=2
	s_andn2_saveexec_b64 s[62:63], s[62:63]
; %bb.767:                              ;   in Loop: Header=BB8_739 Depth=2
	v_or_b32_e32 v7, 0x10000, v6
	v_cmp_eq_u32_sdwa vcc, v6, v3 src0_sel:WORD_0 src1_sel:DWORD
	v_cndmask_b32_e32 v43, v7, v6, vcc
; %bb.768:                              ;   in Loop: Header=BB8_739 Depth=2
	s_or_b64 exec, exec, s[62:63]
	v_and_b32_e32 v6, 0xffff0000, v25
	v_and_b32_e32 v7, 0xffff0000, v21
	v_add_f32_e32 v6, v6, v7
	v_and_b32_e32 v7, 0x7f800000, v6
	v_cmp_ne_u32_e32 vcc, s35, v7
                                        ; implicit-def: $vgpr25
	s_and_saveexec_b64 s[62:63], vcc
	s_xor_b64 s[62:63], exec, s[62:63]
; %bb.769:                              ;   in Loop: Header=BB8_739 Depth=2
	v_bfe_u32 v7, v6, 16, 1
	v_add3_u32 v25, v6, v7, s36
                                        ; implicit-def: $vgpr6
; %bb.770:                              ;   in Loop: Header=BB8_739 Depth=2
	s_andn2_saveexec_b64 s[62:63], s[62:63]
; %bb.771:                              ;   in Loop: Header=BB8_739 Depth=2
	v_or_b32_e32 v7, 0x10000, v6
	v_cmp_eq_u32_sdwa vcc, v6, v3 src0_sel:WORD_0 src1_sel:DWORD
	v_cndmask_b32_e32 v25, v7, v6, vcc
; %bb.772:                              ;   in Loop: Header=BB8_739 Depth=2
	s_or_b64 exec, exec, s[62:63]
	v_lshlrev_b32_e32 v6, 16, v14
	v_lshlrev_b32_e32 v7, 16, v10
	v_add_f32_e32 v6, v6, v7
	v_and_b32_e32 v7, 0x7f800000, v6
	v_cmp_ne_u32_e32 vcc, s35, v7
                                        ; implicit-def: $vgpr31
	s_and_saveexec_b64 s[62:63], vcc
	s_xor_b64 s[62:63], exec, s[62:63]
; %bb.773:                              ;   in Loop: Header=BB8_739 Depth=2
	v_bfe_u32 v7, v6, 16, 1
	v_add3_u32 v31, v6, v7, s36
                                        ; implicit-def: $vgpr6
; %bb.774:                              ;   in Loop: Header=BB8_739 Depth=2
	s_andn2_saveexec_b64 s[62:63], s[62:63]
; %bb.775:                              ;   in Loop: Header=BB8_739 Depth=2
	v_or_b32_e32 v7, 0x10000, v6
	v_cmp_eq_u32_sdwa vcc, v6, v3 src0_sel:WORD_0 src1_sel:DWORD
	v_cndmask_b32_e32 v31, v7, v6, vcc
; %bb.776:                              ;   in Loop: Header=BB8_739 Depth=2
	s_or_b64 exec, exec, s[62:63]
	v_and_b32_e32 v6, 0xffff0000, v14
	v_and_b32_e32 v7, 0xffff0000, v10
	v_add_f32_e32 v6, v6, v7
	v_and_b32_e32 v7, 0x7f800000, v6
	v_cmp_ne_u32_e32 vcc, s35, v7
                                        ; implicit-def: $vgpr14
	s_and_saveexec_b64 s[62:63], vcc
	s_xor_b64 s[62:63], exec, s[62:63]
; %bb.777:                              ;   in Loop: Header=BB8_739 Depth=2
	v_bfe_u32 v7, v6, 16, 1
	v_add3_u32 v14, v6, v7, s36
                                        ; implicit-def: $vgpr6
; %bb.778:                              ;   in Loop: Header=BB8_739 Depth=2
	s_andn2_saveexec_b64 s[62:63], s[62:63]
; %bb.779:                              ;   in Loop: Header=BB8_739 Depth=2
	v_or_b32_e32 v7, 0x10000, v6
	v_cmp_eq_u32_sdwa vcc, v6, v3 src0_sel:WORD_0 src1_sel:DWORD
	v_cndmask_b32_e32 v14, v7, v6, vcc
; %bb.780:                              ;   in Loop: Header=BB8_739 Depth=2
	s_or_b64 exec, exec, s[62:63]
	v_lshlrev_b32_e32 v6, 16, v15
	v_lshlrev_b32_e32 v7, 16, v11
	v_add_f32_e32 v6, v6, v7
	v_and_b32_e32 v7, 0x7f800000, v6
	v_cmp_ne_u32_e32 vcc, s35, v7
                                        ; implicit-def: $vgpr42
	s_and_saveexec_b64 s[62:63], vcc
	s_xor_b64 s[62:63], exec, s[62:63]
; %bb.781:                              ;   in Loop: Header=BB8_739 Depth=2
	v_bfe_u32 v7, v6, 16, 1
	v_add3_u32 v42, v6, v7, s36
                                        ; implicit-def: $vgpr6
; %bb.782:                              ;   in Loop: Header=BB8_739 Depth=2
	s_andn2_saveexec_b64 s[62:63], s[62:63]
; %bb.783:                              ;   in Loop: Header=BB8_739 Depth=2
	v_or_b32_e32 v7, 0x10000, v6
	v_cmp_eq_u32_sdwa vcc, v6, v3 src0_sel:WORD_0 src1_sel:DWORD
	v_cndmask_b32_e32 v42, v7, v6, vcc
; %bb.784:                              ;   in Loop: Header=BB8_739 Depth=2
	s_or_b64 exec, exec, s[62:63]
	v_and_b32_e32 v6, 0xffff0000, v15
	v_and_b32_e32 v7, 0xffff0000, v11
	v_add_f32_e32 v6, v6, v7
	v_and_b32_e32 v7, 0x7f800000, v6
	v_cmp_ne_u32_e32 vcc, s35, v7
                                        ; implicit-def: $vgpr15
	s_and_saveexec_b64 s[62:63], vcc
	s_xor_b64 s[62:63], exec, s[62:63]
; %bb.785:                              ;   in Loop: Header=BB8_739 Depth=2
	v_bfe_u32 v7, v6, 16, 1
	v_add3_u32 v15, v6, v7, s36
                                        ; implicit-def: $vgpr6
; %bb.786:                              ;   in Loop: Header=BB8_739 Depth=2
	s_andn2_saveexec_b64 s[62:63], s[62:63]
; %bb.787:                              ;   in Loop: Header=BB8_739 Depth=2
	v_or_b32_e32 v7, 0x10000, v6
	v_cmp_eq_u32_sdwa vcc, v6, v3 src0_sel:WORD_0 src1_sel:DWORD
	v_cndmask_b32_e32 v15, v7, v6, vcc
; %bb.788:                              ;   in Loop: Header=BB8_739 Depth=2
	s_or_b64 exec, exec, s[62:63]
	v_lshlrev_b32_e32 v6, 16, v16
	v_lshlrev_b32_e32 v7, 16, v12
	v_add_f32_e32 v6, v6, v7
	v_and_b32_e32 v7, 0x7f800000, v6
	v_cmp_ne_u32_e32 vcc, s35, v7
                                        ; implicit-def: $vgpr57
	s_and_saveexec_b64 s[62:63], vcc
	s_xor_b64 s[62:63], exec, s[62:63]
; %bb.789:                              ;   in Loop: Header=BB8_739 Depth=2
	v_bfe_u32 v7, v6, 16, 1
	v_add3_u32 v57, v6, v7, s36
                                        ; implicit-def: $vgpr6
; %bb.790:                              ;   in Loop: Header=BB8_739 Depth=2
	s_andn2_saveexec_b64 s[62:63], s[62:63]
; %bb.791:                              ;   in Loop: Header=BB8_739 Depth=2
	v_or_b32_e32 v7, 0x10000, v6
	v_cmp_eq_u32_sdwa vcc, v6, v3 src0_sel:WORD_0 src1_sel:DWORD
	v_cndmask_b32_e32 v57, v7, v6, vcc
; %bb.792:                              ;   in Loop: Header=BB8_739 Depth=2
	s_or_b64 exec, exec, s[62:63]
	v_and_b32_e32 v6, 0xffff0000, v16
	v_and_b32_e32 v7, 0xffff0000, v12
	v_add_f32_e32 v6, v6, v7
	v_and_b32_e32 v7, 0x7f800000, v6
	v_cmp_ne_u32_e32 vcc, s35, v7
                                        ; implicit-def: $vgpr16
	s_and_saveexec_b64 s[62:63], vcc
	s_xor_b64 s[62:63], exec, s[62:63]
; %bb.793:                              ;   in Loop: Header=BB8_739 Depth=2
	v_bfe_u32 v7, v6, 16, 1
	v_add3_u32 v16, v6, v7, s36
                                        ; implicit-def: $vgpr6
; %bb.794:                              ;   in Loop: Header=BB8_739 Depth=2
	s_andn2_saveexec_b64 s[62:63], s[62:63]
; %bb.795:                              ;   in Loop: Header=BB8_739 Depth=2
	v_or_b32_e32 v7, 0x10000, v6
	v_cmp_eq_u32_sdwa vcc, v6, v3 src0_sel:WORD_0 src1_sel:DWORD
	v_cndmask_b32_e32 v16, v7, v6, vcc
; %bb.796:                              ;   in Loop: Header=BB8_739 Depth=2
	s_or_b64 exec, exec, s[62:63]
	v_lshlrev_b32_e32 v6, 16, v17
	v_lshlrev_b32_e32 v7, 16, v13
	v_add_f32_e32 v7, v6, v7
	v_and_b32_e32 v6, 0x7f800000, v7
	v_cmp_ne_u32_e32 vcc, s35, v6
                                        ; implicit-def: $vgpr6
	s_and_saveexec_b64 s[62:63], vcc
	s_xor_b64 s[62:63], exec, s[62:63]
; %bb.797:                              ;   in Loop: Header=BB8_739 Depth=2
	v_bfe_u32 v6, v7, 16, 1
	v_add3_u32 v6, v7, v6, s36
                                        ; implicit-def: $vgpr7
; %bb.798:                              ;   in Loop: Header=BB8_739 Depth=2
	s_andn2_saveexec_b64 s[62:63], s[62:63]
; %bb.799:                              ;   in Loop: Header=BB8_739 Depth=2
	v_or_b32_e32 v6, 0x10000, v7
	v_cmp_eq_u32_sdwa vcc, v7, v3 src0_sel:WORD_0 src1_sel:DWORD
	v_cndmask_b32_e32 v6, v6, v7, vcc
; %bb.800:                              ;   in Loop: Header=BB8_739 Depth=2
	s_or_b64 exec, exec, s[62:63]
	v_and_b32_e32 v7, 0xffff0000, v17
	v_and_b32_e32 v8, 0xffff0000, v13
	v_add_f32_e32 v8, v7, v8
	v_and_b32_e32 v7, 0x7f800000, v8
	v_cmp_ne_u32_e32 vcc, s35, v7
                                        ; implicit-def: $vgpr7
	s_and_saveexec_b64 s[62:63], vcc
	s_xor_b64 s[62:63], exec, s[62:63]
; %bb.801:                              ;   in Loop: Header=BB8_739 Depth=2
	v_bfe_u32 v7, v8, 16, 1
	v_add3_u32 v7, v8, v7, s36
                                        ; implicit-def: $vgpr8
; %bb.802:                              ;   in Loop: Header=BB8_739 Depth=2
	s_andn2_saveexec_b64 s[62:63], s[62:63]
; %bb.803:                              ;   in Loop: Header=BB8_739 Depth=2
	v_or_b32_e32 v7, 0x10000, v8
	v_cmp_eq_u32_sdwa vcc, v8, v3 src0_sel:WORD_0 src1_sel:DWORD
	v_cndmask_b32_e32 v7, v7, v8, vcc
; %bb.804:                              ;   in Loop: Header=BB8_739 Depth=2
	s_or_b64 exec, exec, s[62:63]
	v_lshrrev_b32_e32 v8, 16, v46
	v_and_or_b32 v23, v2, s37, v8
	v_lshrrev_b32_e32 v2, 16, v56
	v_and_or_b32 v22, v22, s37, v2
	;; [unrolled: 2-line block ×8, first 2 shown]
	global_store_dwordx4 v[61:62], v[22:25], off glc slc
	global_store_dwordx4 v[61:62], v[14:17], off offset:1024 glc slc
	buffer_load_dword v2, off, s[0:3], s33 offset:152 ; 4-byte Folded Reload
	s_waitcnt vmcnt(0)
	v_add_co_u32_e32 v61, vcc, v61, v2
	buffer_load_dword v2, off, s[0:3], s33 offset:172 ; 4-byte Folded Reload
	s_waitcnt vmcnt(0)
	v_addc_co_u32_e32 v62, vcc, v62, v2, vcc
.LBB8_805:                              ;   in Loop: Header=BB8_739 Depth=2
	s_or_b64 exec, exec, s[72:73]
	buffer_load_dword v2, off, s[0:3], s33 offset:152 ; 4-byte Folded Reload
	buffer_load_dword v4, off, s[0:3], s33 offset:172 ; 4-byte Folded Reload
	v_sub_u32_e32 v47, v47, v30
	v_cmp_lt_i32_e64 s[62:63], 0, v47
	s_waitcnt vmcnt(1)
	v_add_co_u32_e32 v0, vcc, v0, v2
	s_waitcnt vmcnt(0)
	v_addc_co_u32_e32 v1, vcc, v1, v4, vcc
	v_add_co_u32_e32 v52, vcc, v52, v2
	v_addc_co_u32_e32 v53, vcc, v53, v4, vcc
	s_and_saveexec_b64 s[72:73], s[62:63]
	s_cbranch_execz .LBB8_807
; %bb.806:                              ;   in Loop: Header=BB8_739 Depth=2
	global_load_dwordx4 v[22:25], v[0:1], off glc slc
	global_load_dwordx4 v[14:17], v[0:1], off offset:1024 glc slc
	global_load_dwordx4 v[18:21], v[52:53], off glc slc
	global_load_dwordx4 v[10:13], v[52:53], off offset:1024 glc slc
	v_add_co_u32_e32 v0, vcc, 0x800, v0
	v_addc_co_u32_e32 v1, vcc, 0, v1, vcc
	v_add_co_u32_e32 v52, vcc, 0x800, v52
	v_addc_co_u32_e32 v53, vcc, 0, v53, vcc
.LBB8_807:                              ;   in Loop: Header=BB8_739 Depth=2
	s_or_b64 exec, exec, s[72:73]
	v_lshlrev_b32_e32 v2, 16, v36
	v_lshlrev_b32_e32 v4, 16, v48
	v_add_f32_e32 v2, v2, v4
	v_and_b32_e32 v4, 0x7f800000, v2
	v_cmp_ne_u32_e32 vcc, s35, v4
                                        ; implicit-def: $vgpr56
	s_and_saveexec_b64 s[72:73], vcc
	s_xor_b64 s[72:73], exec, s[72:73]
; %bb.808:                              ;   in Loop: Header=BB8_739 Depth=2
	v_bfe_u32 v4, v2, 16, 1
	v_add3_u32 v56, v2, v4, s36
                                        ; implicit-def: $vgpr2
; %bb.809:                              ;   in Loop: Header=BB8_739 Depth=2
	s_andn2_saveexec_b64 s[72:73], s[72:73]
; %bb.810:                              ;   in Loop: Header=BB8_739 Depth=2
	v_or_b32_e32 v4, 0x10000, v2
	v_cmp_eq_u32_sdwa vcc, v2, v3 src0_sel:WORD_0 src1_sel:DWORD
	v_cndmask_b32_e32 v56, v4, v2, vcc
; %bb.811:                              ;   in Loop: Header=BB8_739 Depth=2
	s_or_b64 exec, exec, s[72:73]
	v_and_b32_e32 v2, 0xffff0000, v36
	v_and_b32_e32 v4, 0xffff0000, v48
	v_add_f32_e32 v2, v2, v4
	v_and_b32_e32 v4, 0x7f800000, v2
	v_cmp_ne_u32_e32 vcc, s35, v4
                                        ; implicit-def: $vgpr36
	s_and_saveexec_b64 s[72:73], vcc
	s_xor_b64 s[72:73], exec, s[72:73]
; %bb.812:                              ;   in Loop: Header=BB8_739 Depth=2
	v_bfe_u32 v4, v2, 16, 1
	v_add3_u32 v36, v2, v4, s36
                                        ; implicit-def: $vgpr2
; %bb.813:                              ;   in Loop: Header=BB8_739 Depth=2
	s_andn2_saveexec_b64 s[72:73], s[72:73]
; %bb.814:                              ;   in Loop: Header=BB8_739 Depth=2
	v_or_b32_e32 v4, 0x10000, v2
	v_cmp_eq_u32_sdwa vcc, v2, v3 src0_sel:WORD_0 src1_sel:DWORD
	v_cndmask_b32_e32 v36, v4, v2, vcc
; %bb.815:                              ;   in Loop: Header=BB8_739 Depth=2
	s_or_b64 exec, exec, s[72:73]
	v_lshlrev_b32_e32 v2, 16, v37
	v_lshlrev_b32_e32 v4, 16, v49
	v_add_f32_e32 v2, v2, v4
	v_and_b32_e32 v4, 0x7f800000, v2
	v_cmp_ne_u32_e32 vcc, s35, v4
                                        ; implicit-def: $vgpr48
	s_and_saveexec_b64 s[72:73], vcc
	s_xor_b64 s[72:73], exec, s[72:73]
; %bb.816:                              ;   in Loop: Header=BB8_739 Depth=2
	v_bfe_u32 v4, v2, 16, 1
	v_add3_u32 v48, v2, v4, s36
                                        ; implicit-def: $vgpr2
; %bb.817:                              ;   in Loop: Header=BB8_739 Depth=2
	s_andn2_saveexec_b64 s[72:73], s[72:73]
; %bb.818:                              ;   in Loop: Header=BB8_739 Depth=2
	v_or_b32_e32 v4, 0x10000, v2
	v_cmp_eq_u32_sdwa vcc, v2, v3 src0_sel:WORD_0 src1_sel:DWORD
	v_cndmask_b32_e32 v48, v4, v2, vcc
; %bb.819:                              ;   in Loop: Header=BB8_739 Depth=2
	s_or_b64 exec, exec, s[72:73]
	v_and_b32_e32 v2, 0xffff0000, v37
	v_and_b32_e32 v4, 0xffff0000, v49
	v_add_f32_e32 v4, v2, v4
	v_and_b32_e32 v2, 0x7f800000, v4
	v_cmp_ne_u32_e32 vcc, s35, v2
                                        ; implicit-def: $vgpr2
	s_and_saveexec_b64 s[72:73], vcc
	s_xor_b64 s[72:73], exec, s[72:73]
; %bb.820:                              ;   in Loop: Header=BB8_739 Depth=2
	v_bfe_u32 v2, v4, 16, 1
	v_add3_u32 v2, v4, v2, s36
                                        ; implicit-def: $vgpr4
; %bb.821:                              ;   in Loop: Header=BB8_739 Depth=2
	s_andn2_saveexec_b64 s[72:73], s[72:73]
; %bb.822:                              ;   in Loop: Header=BB8_739 Depth=2
	v_or_b32_e32 v2, 0x10000, v4
	v_cmp_eq_u32_sdwa vcc, v4, v3 src0_sel:WORD_0 src1_sel:DWORD
	v_cndmask_b32_e32 v2, v2, v4, vcc
; %bb.823:                              ;   in Loop: Header=BB8_739 Depth=2
	s_or_b64 exec, exec, s[72:73]
	v_lshlrev_b32_e32 v4, 16, v38
	v_lshlrev_b32_e32 v5, 16, v50
	v_add_f32_e32 v5, v4, v5
	v_and_b32_e32 v4, 0x7f800000, v5
	v_cmp_ne_u32_e32 vcc, s35, v4
                                        ; implicit-def: $vgpr4
	s_and_saveexec_b64 s[72:73], vcc
	s_xor_b64 s[72:73], exec, s[72:73]
; %bb.824:                              ;   in Loop: Header=BB8_739 Depth=2
	v_bfe_u32 v4, v5, 16, 1
	v_add3_u32 v4, v5, v4, s36
                                        ; implicit-def: $vgpr5
; %bb.825:                              ;   in Loop: Header=BB8_739 Depth=2
	s_andn2_saveexec_b64 s[72:73], s[72:73]
; %bb.826:                              ;   in Loop: Header=BB8_739 Depth=2
	v_or_b32_e32 v4, 0x10000, v5
	v_cmp_eq_u32_sdwa vcc, v5, v3 src0_sel:WORD_0 src1_sel:DWORD
	v_cndmask_b32_e32 v4, v4, v5, vcc
; %bb.827:                              ;   in Loop: Header=BB8_739 Depth=2
	s_or_b64 exec, exec, s[72:73]
	v_and_b32_e32 v5, 0xffff0000, v38
	v_and_b32_e32 v6, 0xffff0000, v50
	v_add_f32_e32 v6, v5, v6
	v_and_b32_e32 v5, 0x7f800000, v6
	v_cmp_ne_u32_e32 vcc, s35, v5
                                        ; implicit-def: $vgpr5
	s_and_saveexec_b64 s[72:73], vcc
	s_xor_b64 s[72:73], exec, s[72:73]
; %bb.828:                              ;   in Loop: Header=BB8_739 Depth=2
	v_bfe_u32 v5, v6, 16, 1
	v_add3_u32 v5, v6, v5, s36
                                        ; implicit-def: $vgpr6
; %bb.829:                              ;   in Loop: Header=BB8_739 Depth=2
	s_andn2_saveexec_b64 s[72:73], s[72:73]
; %bb.830:                              ;   in Loop: Header=BB8_739 Depth=2
	v_or_b32_e32 v5, 0x10000, v6
	v_cmp_eq_u32_sdwa vcc, v6, v3 src0_sel:WORD_0 src1_sel:DWORD
	v_cndmask_b32_e32 v5, v5, v6, vcc
; %bb.831:                              ;   in Loop: Header=BB8_739 Depth=2
	s_or_b64 exec, exec, s[72:73]
	v_lshlrev_b32_e32 v6, 16, v39
	v_lshlrev_b32_e32 v7, 16, v51
	v_add_f32_e32 v6, v6, v7
	v_and_b32_e32 v7, 0x7f800000, v6
	v_cmp_ne_u32_e32 vcc, s35, v7
                                        ; implicit-def: $vgpr37
	s_and_saveexec_b64 s[72:73], vcc
	s_xor_b64 s[72:73], exec, s[72:73]
; %bb.832:                              ;   in Loop: Header=BB8_739 Depth=2
	v_bfe_u32 v7, v6, 16, 1
	v_add3_u32 v37, v6, v7, s36
                                        ; implicit-def: $vgpr6
; %bb.833:                              ;   in Loop: Header=BB8_739 Depth=2
	s_andn2_saveexec_b64 s[72:73], s[72:73]
; %bb.834:                              ;   in Loop: Header=BB8_739 Depth=2
	v_or_b32_e32 v7, 0x10000, v6
	v_cmp_eq_u32_sdwa vcc, v6, v3 src0_sel:WORD_0 src1_sel:DWORD
	v_cndmask_b32_e32 v37, v7, v6, vcc
; %bb.835:                              ;   in Loop: Header=BB8_739 Depth=2
	s_or_b64 exec, exec, s[72:73]
	v_and_b32_e32 v6, 0xffff0000, v39
	v_and_b32_e32 v7, 0xffff0000, v51
	v_add_f32_e32 v6, v6, v7
	v_and_b32_e32 v7, 0x7f800000, v6
	v_cmp_ne_u32_e32 vcc, s35, v7
                                        ; implicit-def: $vgpr38
	s_and_saveexec_b64 s[72:73], vcc
	s_xor_b64 s[72:73], exec, s[72:73]
; %bb.836:                              ;   in Loop: Header=BB8_739 Depth=2
	v_bfe_u32 v7, v6, 16, 1
	v_add3_u32 v38, v6, v7, s36
                                        ; implicit-def: $vgpr6
; %bb.837:                              ;   in Loop: Header=BB8_739 Depth=2
	s_andn2_saveexec_b64 s[72:73], s[72:73]
; %bb.838:                              ;   in Loop: Header=BB8_739 Depth=2
	v_or_b32_e32 v7, 0x10000, v6
	v_cmp_eq_u32_sdwa vcc, v6, v3 src0_sel:WORD_0 src1_sel:DWORD
	v_cndmask_b32_e32 v38, v7, v6, vcc
; %bb.839:                              ;   in Loop: Header=BB8_739 Depth=2
	s_or_b64 exec, exec, s[72:73]
	v_lshlrev_b32_e32 v6, 16, v26
	v_lshlrev_b32_e32 v7, 16, v32
	v_add_f32_e32 v6, v6, v7
	v_and_b32_e32 v7, 0x7f800000, v6
	v_cmp_ne_u32_e32 vcc, s35, v7
                                        ; implicit-def: $vgpr31
	s_and_saveexec_b64 s[72:73], vcc
	s_xor_b64 s[72:73], exec, s[72:73]
; %bb.840:                              ;   in Loop: Header=BB8_739 Depth=2
	v_bfe_u32 v7, v6, 16, 1
	v_add3_u32 v31, v6, v7, s36
                                        ; implicit-def: $vgpr6
; %bb.841:                              ;   in Loop: Header=BB8_739 Depth=2
	s_andn2_saveexec_b64 s[72:73], s[72:73]
; %bb.842:                              ;   in Loop: Header=BB8_739 Depth=2
	v_or_b32_e32 v7, 0x10000, v6
	v_cmp_eq_u32_sdwa vcc, v6, v3 src0_sel:WORD_0 src1_sel:DWORD
	v_cndmask_b32_e32 v31, v7, v6, vcc
; %bb.843:                              ;   in Loop: Header=BB8_739 Depth=2
	s_or_b64 exec, exec, s[72:73]
	v_and_b32_e32 v6, 0xffff0000, v26
	v_and_b32_e32 v7, 0xffff0000, v32
	v_add_f32_e32 v6, v6, v7
	v_and_b32_e32 v7, 0x7f800000, v6
	v_cmp_ne_u32_e32 vcc, s35, v7
                                        ; implicit-def: $vgpr26
	s_and_saveexec_b64 s[72:73], vcc
	s_xor_b64 s[72:73], exec, s[72:73]
; %bb.844:                              ;   in Loop: Header=BB8_739 Depth=2
	v_bfe_u32 v7, v6, 16, 1
	v_add3_u32 v26, v6, v7, s36
                                        ; implicit-def: $vgpr6
; %bb.845:                              ;   in Loop: Header=BB8_739 Depth=2
	s_andn2_saveexec_b64 s[72:73], s[72:73]
; %bb.846:                              ;   in Loop: Header=BB8_739 Depth=2
	v_or_b32_e32 v7, 0x10000, v6
	v_cmp_eq_u32_sdwa vcc, v6, v3 src0_sel:WORD_0 src1_sel:DWORD
	v_cndmask_b32_e32 v26, v7, v6, vcc
; %bb.847:                              ;   in Loop: Header=BB8_739 Depth=2
	s_or_b64 exec, exec, s[72:73]
	v_lshlrev_b32_e32 v6, 16, v27
	v_lshlrev_b32_e32 v7, 16, v33
	v_add_f32_e32 v6, v6, v7
	v_and_b32_e32 v7, 0x7f800000, v6
	v_cmp_ne_u32_e32 vcc, s35, v7
                                        ; implicit-def: $vgpr32
	s_and_saveexec_b64 s[72:73], vcc
	s_xor_b64 s[72:73], exec, s[72:73]
; %bb.848:                              ;   in Loop: Header=BB8_739 Depth=2
	v_bfe_u32 v7, v6, 16, 1
	v_add3_u32 v32, v6, v7, s36
                                        ; implicit-def: $vgpr6
; %bb.849:                              ;   in Loop: Header=BB8_739 Depth=2
	s_andn2_saveexec_b64 s[72:73], s[72:73]
; %bb.850:                              ;   in Loop: Header=BB8_739 Depth=2
	v_or_b32_e32 v7, 0x10000, v6
	v_cmp_eq_u32_sdwa vcc, v6, v3 src0_sel:WORD_0 src1_sel:DWORD
	v_cndmask_b32_e32 v32, v7, v6, vcc
; %bb.851:                              ;   in Loop: Header=BB8_739 Depth=2
	s_or_b64 exec, exec, s[72:73]
	v_and_b32_e32 v6, 0xffff0000, v27
	v_and_b32_e32 v7, 0xffff0000, v33
	v_add_f32_e32 v6, v6, v7
	v_and_b32_e32 v7, 0x7f800000, v6
	v_cmp_ne_u32_e32 vcc, s35, v7
                                        ; implicit-def: $vgpr27
	s_and_saveexec_b64 s[72:73], vcc
	s_xor_b64 s[72:73], exec, s[72:73]
; %bb.852:                              ;   in Loop: Header=BB8_739 Depth=2
	v_bfe_u32 v7, v6, 16, 1
	v_add3_u32 v27, v6, v7, s36
                                        ; implicit-def: $vgpr6
; %bb.853:                              ;   in Loop: Header=BB8_739 Depth=2
	s_andn2_saveexec_b64 s[72:73], s[72:73]
; %bb.854:                              ;   in Loop: Header=BB8_739 Depth=2
	v_or_b32_e32 v7, 0x10000, v6
	v_cmp_eq_u32_sdwa vcc, v6, v3 src0_sel:WORD_0 src1_sel:DWORD
	v_cndmask_b32_e32 v27, v7, v6, vcc
; %bb.855:                              ;   in Loop: Header=BB8_739 Depth=2
	s_or_b64 exec, exec, s[72:73]
	v_lshlrev_b32_e32 v6, 16, v28
	v_lshlrev_b32_e32 v7, 16, v34
	v_add_f32_e32 v6, v6, v7
	v_and_b32_e32 v7, 0x7f800000, v6
	v_cmp_ne_u32_e32 vcc, s35, v7
                                        ; implicit-def: $vgpr33
	s_and_saveexec_b64 s[72:73], vcc
	s_xor_b64 s[72:73], exec, s[72:73]
; %bb.856:                              ;   in Loop: Header=BB8_739 Depth=2
	v_bfe_u32 v7, v6, 16, 1
	v_add3_u32 v33, v6, v7, s36
                                        ; implicit-def: $vgpr6
; %bb.857:                              ;   in Loop: Header=BB8_739 Depth=2
	s_andn2_saveexec_b64 s[72:73], s[72:73]
; %bb.858:                              ;   in Loop: Header=BB8_739 Depth=2
	v_or_b32_e32 v7, 0x10000, v6
	v_cmp_eq_u32_sdwa vcc, v6, v3 src0_sel:WORD_0 src1_sel:DWORD
	v_cndmask_b32_e32 v33, v7, v6, vcc
; %bb.859:                              ;   in Loop: Header=BB8_739 Depth=2
	s_or_b64 exec, exec, s[72:73]
	v_and_b32_e32 v6, 0xffff0000, v28
	v_and_b32_e32 v7, 0xffff0000, v34
	v_add_f32_e32 v6, v6, v7
	v_and_b32_e32 v7, 0x7f800000, v6
	v_cmp_ne_u32_e32 vcc, s35, v7
                                        ; implicit-def: $vgpr28
	s_and_saveexec_b64 s[72:73], vcc
	s_xor_b64 s[72:73], exec, s[72:73]
; %bb.860:                              ;   in Loop: Header=BB8_739 Depth=2
	v_bfe_u32 v7, v6, 16, 1
	v_add3_u32 v28, v6, v7, s36
                                        ; implicit-def: $vgpr6
; %bb.861:                              ;   in Loop: Header=BB8_739 Depth=2
	s_andn2_saveexec_b64 s[72:73], s[72:73]
; %bb.862:                              ;   in Loop: Header=BB8_739 Depth=2
	v_or_b32_e32 v7, 0x10000, v6
	v_cmp_eq_u32_sdwa vcc, v6, v3 src0_sel:WORD_0 src1_sel:DWORD
	v_cndmask_b32_e32 v28, v7, v6, vcc
; %bb.863:                              ;   in Loop: Header=BB8_739 Depth=2
	s_or_b64 exec, exec, s[72:73]
	v_lshlrev_b32_e32 v6, 16, v29
	v_lshlrev_b32_e32 v7, 16, v35
	v_add_f32_e32 v7, v6, v7
	v_and_b32_e32 v6, 0x7f800000, v7
	v_cmp_ne_u32_e32 vcc, s35, v6
                                        ; implicit-def: $vgpr6
	s_and_saveexec_b64 s[72:73], vcc
	s_xor_b64 s[72:73], exec, s[72:73]
; %bb.864:                              ;   in Loop: Header=BB8_739 Depth=2
	v_bfe_u32 v6, v7, 16, 1
	v_add3_u32 v6, v7, v6, s36
                                        ; implicit-def: $vgpr7
; %bb.865:                              ;   in Loop: Header=BB8_739 Depth=2
	s_andn2_saveexec_b64 s[72:73], s[72:73]
; %bb.866:                              ;   in Loop: Header=BB8_739 Depth=2
	v_or_b32_e32 v6, 0x10000, v7
	v_cmp_eq_u32_sdwa vcc, v7, v3 src0_sel:WORD_0 src1_sel:DWORD
	v_cndmask_b32_e32 v6, v6, v7, vcc
; %bb.867:                              ;   in Loop: Header=BB8_739 Depth=2
	s_or_b64 exec, exec, s[72:73]
	v_and_b32_e32 v7, 0xffff0000, v29
	v_and_b32_e32 v8, 0xffff0000, v35
	v_add_f32_e32 v8, v7, v8
	v_and_b32_e32 v7, 0x7f800000, v8
	v_cmp_ne_u32_e32 vcc, s35, v7
                                        ; implicit-def: $vgpr7
	s_and_saveexec_b64 s[72:73], vcc
	s_xor_b64 s[72:73], exec, s[72:73]
; %bb.868:                              ;   in Loop: Header=BB8_739 Depth=2
	v_bfe_u32 v7, v8, 16, 1
	v_add3_u32 v7, v8, v7, s36
                                        ; implicit-def: $vgpr8
; %bb.869:                              ;   in Loop: Header=BB8_739 Depth=2
	s_andn2_saveexec_b64 s[72:73], s[72:73]
	s_cbranch_execz .LBB8_738
; %bb.870:                              ;   in Loop: Header=BB8_739 Depth=2
	v_or_b32_e32 v7, 0x10000, v8
	v_cmp_eq_u32_sdwa vcc, v8, v3 src0_sel:WORD_0 src1_sel:DWORD
	v_cndmask_b32_e32 v7, v7, v8, vcc
	s_branch .LBB8_738
.LBB8_871:                              ;   in Loop: Header=BB8_662 Depth=1
	buffer_load_dword v16, off, s[0:3], s33 offset:260 ; 4-byte Folded Reload
	v_mov_b32_e32 v2, v26
	s_and_saveexec_b64 s[20:21], s[58:59]
	s_cbranch_execnz .LBB8_1055
	s_branch .LBB8_1186
.LBB8_872:                              ;   in Loop: Header=BB8_662 Depth=1
	s_or_b64 exec, exec, s[20:21]
	buffer_load_dword v26, off, s[0:3], s33 offset:296 ; 4-byte Folded Reload
	buffer_load_dword v28, off, s[0:3], s33 offset:300 ; 4-byte Folded Reload
	;; [unrolled: 1-line block ×11, first 2 shown]
	s_and_b64 s[20:21], s[60:61], exec
	v_mov_b32_e32 v27, v9
.LBB8_873:                              ;   in Loop: Header=BB8_662 Depth=1
	s_or_b64 exec, exec, s[18:19]
	s_and_saveexec_b64 s[18:19], s[20:21]
	s_cbranch_execz .LBB8_939
; %bb.874:                              ;   in Loop: Header=BB8_662 Depth=1
	v_lshlrev_b32_e32 v0, 16, v22
	v_lshlrev_b32_e32 v1, 16, v18
	v_add_f32_e32 v1, v1, v0
	v_and_b32_e32 v0, 0x7f800000, v1
	v_cmp_ne_u32_e32 vcc, s35, v0
                                        ; implicit-def: $vgpr0
	s_and_saveexec_b64 s[20:21], vcc
	s_xor_b64 s[20:21], exec, s[20:21]
; %bb.875:                              ;   in Loop: Header=BB8_662 Depth=1
	v_bfe_u32 v0, v1, 16, 1
	v_add3_u32 v0, v1, v0, s36
                                        ; implicit-def: $vgpr1
; %bb.876:                              ;   in Loop: Header=BB8_662 Depth=1
	s_andn2_saveexec_b64 s[20:21], s[20:21]
; %bb.877:                              ;   in Loop: Header=BB8_662 Depth=1
	v_or_b32_e32 v0, 0x10000, v1
	v_cmp_eq_u32_sdwa vcc, v1, v3 src0_sel:WORD_0 src1_sel:DWORD
	v_cndmask_b32_e32 v0, v0, v1, vcc
; %bb.878:                              ;   in Loop: Header=BB8_662 Depth=1
	s_or_b64 exec, exec, s[20:21]
	v_and_b32_e32 v1, 0xffff0000, v22
	v_and_b32_e32 v2, 0xffff0000, v18
	v_add_f32_e32 v2, v2, v1
	v_and_b32_e32 v1, 0x7f800000, v2
	v_cmp_ne_u32_e32 vcc, s35, v1
                                        ; implicit-def: $vgpr1
	s_and_saveexec_b64 s[20:21], vcc
	s_xor_b64 s[20:21], exec, s[20:21]
; %bb.879:                              ;   in Loop: Header=BB8_662 Depth=1
	v_bfe_u32 v1, v2, 16, 1
	v_add3_u32 v1, v2, v1, s36
                                        ; implicit-def: $vgpr2
; %bb.880:                              ;   in Loop: Header=BB8_662 Depth=1
	s_andn2_saveexec_b64 s[20:21], s[20:21]
; %bb.881:                              ;   in Loop: Header=BB8_662 Depth=1
	v_or_b32_e32 v1, 0x10000, v2
	v_cmp_eq_u32_sdwa vcc, v2, v3 src0_sel:WORD_0 src1_sel:DWORD
	v_cndmask_b32_e32 v1, v1, v2, vcc
; %bb.882:                              ;   in Loop: Header=BB8_662 Depth=1
	s_or_b64 exec, exec, s[20:21]
	v_lshlrev_b32_e32 v2, 16, v23
	v_lshlrev_b32_e32 v4, 16, v19
	v_add_f32_e32 v2, v4, v2
	v_and_b32_e32 v4, 0x7f800000, v2
	v_cmp_ne_u32_e32 vcc, s35, v4
                                        ; implicit-def: $vgpr18
	s_and_saveexec_b64 s[20:21], vcc
	s_xor_b64 s[20:21], exec, s[20:21]
; %bb.883:                              ;   in Loop: Header=BB8_662 Depth=1
	v_bfe_u32 v4, v2, 16, 1
	v_add3_u32 v18, v2, v4, s36
                                        ; implicit-def: $vgpr2
; %bb.884:                              ;   in Loop: Header=BB8_662 Depth=1
	s_andn2_saveexec_b64 s[20:21], s[20:21]
; %bb.885:                              ;   in Loop: Header=BB8_662 Depth=1
	v_or_b32_e32 v4, 0x10000, v2
	v_cmp_eq_u32_sdwa vcc, v2, v3 src0_sel:WORD_0 src1_sel:DWORD
	v_cndmask_b32_e32 v18, v4, v2, vcc
; %bb.886:                              ;   in Loop: Header=BB8_662 Depth=1
	s_or_b64 exec, exec, s[20:21]
	v_and_b32_e32 v2, 0xffff0000, v23
	v_and_b32_e32 v4, 0xffff0000, v19
	v_add_f32_e32 v4, v4, v2
	v_and_b32_e32 v2, 0x7f800000, v4
	v_cmp_ne_u32_e32 vcc, s35, v2
                                        ; implicit-def: $vgpr2
	s_and_saveexec_b64 s[20:21], vcc
	s_xor_b64 s[20:21], exec, s[20:21]
; %bb.887:                              ;   in Loop: Header=BB8_662 Depth=1
	v_bfe_u32 v2, v4, 16, 1
	v_add3_u32 v2, v4, v2, s36
                                        ; implicit-def: $vgpr4
; %bb.888:                              ;   in Loop: Header=BB8_662 Depth=1
	s_andn2_saveexec_b64 s[20:21], s[20:21]
; %bb.889:                              ;   in Loop: Header=BB8_662 Depth=1
	v_or_b32_e32 v2, 0x10000, v4
	v_cmp_eq_u32_sdwa vcc, v4, v3 src0_sel:WORD_0 src1_sel:DWORD
	v_cndmask_b32_e32 v2, v2, v4, vcc
; %bb.890:                              ;   in Loop: Header=BB8_662 Depth=1
	s_or_b64 exec, exec, s[20:21]
	v_lshlrev_b32_e32 v4, 16, v24
	v_lshlrev_b32_e32 v5, 16, v20
	v_add_f32_e32 v5, v5, v4
	v_and_b32_e32 v4, 0x7f800000, v5
	v_cmp_ne_u32_e32 vcc, s35, v4
                                        ; implicit-def: $vgpr4
	s_and_saveexec_b64 s[20:21], vcc
	s_xor_b64 s[20:21], exec, s[20:21]
; %bb.891:                              ;   in Loop: Header=BB8_662 Depth=1
	v_bfe_u32 v4, v5, 16, 1
	v_add3_u32 v4, v5, v4, s36
                                        ; implicit-def: $vgpr5
; %bb.892:                              ;   in Loop: Header=BB8_662 Depth=1
	s_andn2_saveexec_b64 s[20:21], s[20:21]
; %bb.893:                              ;   in Loop: Header=BB8_662 Depth=1
	v_or_b32_e32 v4, 0x10000, v5
	v_cmp_eq_u32_sdwa vcc, v5, v3 src0_sel:WORD_0 src1_sel:DWORD
	v_cndmask_b32_e32 v4, v4, v5, vcc
; %bb.894:                              ;   in Loop: Header=BB8_662 Depth=1
	s_or_b64 exec, exec, s[20:21]
	v_and_b32_e32 v5, 0xffff0000, v24
	v_and_b32_e32 v6, 0xffff0000, v20
	v_add_f32_e32 v6, v6, v5
	v_and_b32_e32 v5, 0x7f800000, v6
	v_cmp_ne_u32_e32 vcc, s35, v5
                                        ; implicit-def: $vgpr5
	s_and_saveexec_b64 s[20:21], vcc
	s_xor_b64 s[20:21], exec, s[20:21]
; %bb.895:                              ;   in Loop: Header=BB8_662 Depth=1
	v_bfe_u32 v5, v6, 16, 1
	v_add3_u32 v5, v6, v5, s36
                                        ; implicit-def: $vgpr6
; %bb.896:                              ;   in Loop: Header=BB8_662 Depth=1
	s_andn2_saveexec_b64 s[20:21], s[20:21]
; %bb.897:                              ;   in Loop: Header=BB8_662 Depth=1
	v_or_b32_e32 v5, 0x10000, v6
	v_cmp_eq_u32_sdwa vcc, v6, v3 src0_sel:WORD_0 src1_sel:DWORD
	v_cndmask_b32_e32 v5, v5, v6, vcc
; %bb.898:                              ;   in Loop: Header=BB8_662 Depth=1
	s_or_b64 exec, exec, s[20:21]
	v_lshlrev_b32_e32 v6, 16, v25
	v_lshlrev_b32_e32 v7, 16, v21
	v_add_f32_e32 v6, v7, v6
	v_and_b32_e32 v7, 0x7f800000, v6
	v_cmp_ne_u32_e32 vcc, s35, v7
                                        ; implicit-def: $vgpr19
	s_and_saveexec_b64 s[20:21], vcc
	s_xor_b64 s[20:21], exec, s[20:21]
; %bb.899:                              ;   in Loop: Header=BB8_662 Depth=1
	v_bfe_u32 v7, v6, 16, 1
	v_add3_u32 v19, v6, v7, s36
                                        ; implicit-def: $vgpr6
; %bb.900:                              ;   in Loop: Header=BB8_662 Depth=1
	s_andn2_saveexec_b64 s[20:21], s[20:21]
; %bb.901:                              ;   in Loop: Header=BB8_662 Depth=1
	v_or_b32_e32 v7, 0x10000, v6
	v_cmp_eq_u32_sdwa vcc, v6, v3 src0_sel:WORD_0 src1_sel:DWORD
	v_cndmask_b32_e32 v19, v7, v6, vcc
; %bb.902:                              ;   in Loop: Header=BB8_662 Depth=1
	s_or_b64 exec, exec, s[20:21]
	v_and_b32_e32 v6, 0xffff0000, v25
	v_and_b32_e32 v7, 0xffff0000, v21
	v_add_f32_e32 v6, v7, v6
	v_and_b32_e32 v7, 0x7f800000, v6
	v_cmp_ne_u32_e32 vcc, s35, v7
                                        ; implicit-def: $vgpr20
	s_and_saveexec_b64 s[20:21], vcc
	s_xor_b64 s[20:21], exec, s[20:21]
; %bb.903:                              ;   in Loop: Header=BB8_662 Depth=1
	v_bfe_u32 v7, v6, 16, 1
	v_add3_u32 v20, v6, v7, s36
                                        ; implicit-def: $vgpr6
; %bb.904:                              ;   in Loop: Header=BB8_662 Depth=1
	s_andn2_saveexec_b64 s[20:21], s[20:21]
; %bb.905:                              ;   in Loop: Header=BB8_662 Depth=1
	v_or_b32_e32 v7, 0x10000, v6
	v_cmp_eq_u32_sdwa vcc, v6, v3 src0_sel:WORD_0 src1_sel:DWORD
	v_cndmask_b32_e32 v20, v7, v6, vcc
; %bb.906:                              ;   in Loop: Header=BB8_662 Depth=1
	s_or_b64 exec, exec, s[20:21]
	v_lshlrev_b32_e32 v6, 16, v14
	v_lshlrev_b32_e32 v7, 16, v10
	v_add_f32_e32 v6, v7, v6
	v_and_b32_e32 v7, 0x7f800000, v6
	v_cmp_ne_u32_e32 vcc, s35, v7
                                        ; implicit-def: $vgpr21
	s_and_saveexec_b64 s[20:21], vcc
	s_xor_b64 s[20:21], exec, s[20:21]
; %bb.907:                              ;   in Loop: Header=BB8_662 Depth=1
	v_bfe_u32 v7, v6, 16, 1
	v_add3_u32 v21, v6, v7, s36
                                        ; implicit-def: $vgpr6
; %bb.908:                              ;   in Loop: Header=BB8_662 Depth=1
	s_andn2_saveexec_b64 s[20:21], s[20:21]
; %bb.909:                              ;   in Loop: Header=BB8_662 Depth=1
	v_or_b32_e32 v7, 0x10000, v6
	v_cmp_eq_u32_sdwa vcc, v6, v3 src0_sel:WORD_0 src1_sel:DWORD
	v_cndmask_b32_e32 v21, v7, v6, vcc
; %bb.910:                              ;   in Loop: Header=BB8_662 Depth=1
	s_or_b64 exec, exec, s[20:21]
	v_and_b32_e32 v6, 0xffff0000, v14
	v_and_b32_e32 v7, 0xffff0000, v10
	v_add_f32_e32 v6, v7, v6
	v_and_b32_e32 v7, 0x7f800000, v6
	v_cmp_ne_u32_e32 vcc, s35, v7
                                        ; implicit-def: $vgpr10
	s_and_saveexec_b64 s[20:21], vcc
	s_xor_b64 s[20:21], exec, s[20:21]
; %bb.911:                              ;   in Loop: Header=BB8_662 Depth=1
	v_bfe_u32 v7, v6, 16, 1
	v_add3_u32 v10, v6, v7, s36
                                        ; implicit-def: $vgpr6
; %bb.912:                              ;   in Loop: Header=BB8_662 Depth=1
	s_andn2_saveexec_b64 s[20:21], s[20:21]
; %bb.913:                              ;   in Loop: Header=BB8_662 Depth=1
	v_or_b32_e32 v7, 0x10000, v6
	v_cmp_eq_u32_sdwa vcc, v6, v3 src0_sel:WORD_0 src1_sel:DWORD
	v_cndmask_b32_e32 v10, v7, v6, vcc
; %bb.914:                              ;   in Loop: Header=BB8_662 Depth=1
	s_or_b64 exec, exec, s[20:21]
	v_lshlrev_b32_e32 v6, 16, v15
	v_lshlrev_b32_e32 v7, 16, v11
	v_add_f32_e32 v6, v7, v6
	v_and_b32_e32 v7, 0x7f800000, v6
	v_cmp_ne_u32_e32 vcc, s35, v7
                                        ; implicit-def: $vgpr14
	s_and_saveexec_b64 s[20:21], vcc
	s_xor_b64 s[20:21], exec, s[20:21]
; %bb.915:                              ;   in Loop: Header=BB8_662 Depth=1
	v_bfe_u32 v7, v6, 16, 1
	v_add3_u32 v14, v6, v7, s36
                                        ; implicit-def: $vgpr6
; %bb.916:                              ;   in Loop: Header=BB8_662 Depth=1
	s_andn2_saveexec_b64 s[20:21], s[20:21]
; %bb.917:                              ;   in Loop: Header=BB8_662 Depth=1
	v_or_b32_e32 v7, 0x10000, v6
	v_cmp_eq_u32_sdwa vcc, v6, v3 src0_sel:WORD_0 src1_sel:DWORD
	v_cndmask_b32_e32 v14, v7, v6, vcc
; %bb.918:                              ;   in Loop: Header=BB8_662 Depth=1
	s_or_b64 exec, exec, s[20:21]
	v_and_b32_e32 v6, 0xffff0000, v15
	v_and_b32_e32 v7, 0xffff0000, v11
	v_add_f32_e32 v6, v7, v6
	v_and_b32_e32 v7, 0x7f800000, v6
	v_cmp_ne_u32_e32 vcc, s35, v7
                                        ; implicit-def: $vgpr11
	s_and_saveexec_b64 s[20:21], vcc
	s_xor_b64 s[20:21], exec, s[20:21]
; %bb.919:                              ;   in Loop: Header=BB8_662 Depth=1
	v_bfe_u32 v7, v6, 16, 1
	v_add3_u32 v11, v6, v7, s36
                                        ; implicit-def: $vgpr6
; %bb.920:                              ;   in Loop: Header=BB8_662 Depth=1
	s_andn2_saveexec_b64 s[20:21], s[20:21]
; %bb.921:                              ;   in Loop: Header=BB8_662 Depth=1
	v_or_b32_e32 v7, 0x10000, v6
	v_cmp_eq_u32_sdwa vcc, v6, v3 src0_sel:WORD_0 src1_sel:DWORD
	v_cndmask_b32_e32 v11, v7, v6, vcc
; %bb.922:                              ;   in Loop: Header=BB8_662 Depth=1
	s_or_b64 exec, exec, s[20:21]
	v_lshlrev_b32_e32 v6, 16, v16
	v_lshlrev_b32_e32 v7, 16, v12
	v_add_f32_e32 v6, v7, v6
	v_and_b32_e32 v7, 0x7f800000, v6
	v_cmp_ne_u32_e32 vcc, s35, v7
                                        ; implicit-def: $vgpr15
	s_and_saveexec_b64 s[20:21], vcc
	s_xor_b64 s[20:21], exec, s[20:21]
; %bb.923:                              ;   in Loop: Header=BB8_662 Depth=1
	v_bfe_u32 v7, v6, 16, 1
	v_add3_u32 v15, v6, v7, s36
                                        ; implicit-def: $vgpr6
; %bb.924:                              ;   in Loop: Header=BB8_662 Depth=1
	s_andn2_saveexec_b64 s[20:21], s[20:21]
; %bb.925:                              ;   in Loop: Header=BB8_662 Depth=1
	v_or_b32_e32 v7, 0x10000, v6
	v_cmp_eq_u32_sdwa vcc, v6, v3 src0_sel:WORD_0 src1_sel:DWORD
	v_cndmask_b32_e32 v15, v7, v6, vcc
; %bb.926:                              ;   in Loop: Header=BB8_662 Depth=1
	s_or_b64 exec, exec, s[20:21]
	v_and_b32_e32 v6, 0xffff0000, v16
	v_and_b32_e32 v7, 0xffff0000, v12
	v_add_f32_e32 v6, v7, v6
	v_and_b32_e32 v7, 0x7f800000, v6
	v_cmp_ne_u32_e32 vcc, s35, v7
                                        ; implicit-def: $vgpr12
	s_and_saveexec_b64 s[20:21], vcc
	s_xor_b64 s[20:21], exec, s[20:21]
; %bb.927:                              ;   in Loop: Header=BB8_662 Depth=1
	v_bfe_u32 v7, v6, 16, 1
	v_add3_u32 v12, v6, v7, s36
                                        ; implicit-def: $vgpr6
; %bb.928:                              ;   in Loop: Header=BB8_662 Depth=1
	s_andn2_saveexec_b64 s[20:21], s[20:21]
; %bb.929:                              ;   in Loop: Header=BB8_662 Depth=1
	v_or_b32_e32 v7, 0x10000, v6
	v_cmp_eq_u32_sdwa vcc, v6, v3 src0_sel:WORD_0 src1_sel:DWORD
	v_cndmask_b32_e32 v12, v7, v6, vcc
; %bb.930:                              ;   in Loop: Header=BB8_662 Depth=1
	s_or_b64 exec, exec, s[20:21]
	v_lshlrev_b32_e32 v6, 16, v17
	v_lshlrev_b32_e32 v7, 16, v13
	v_add_f32_e32 v7, v7, v6
	v_and_b32_e32 v6, 0x7f800000, v7
	v_cmp_ne_u32_e32 vcc, s35, v6
                                        ; implicit-def: $vgpr6
	s_and_saveexec_b64 s[20:21], vcc
	s_xor_b64 s[20:21], exec, s[20:21]
; %bb.931:                              ;   in Loop: Header=BB8_662 Depth=1
	v_bfe_u32 v6, v7, 16, 1
	v_add3_u32 v6, v7, v6, s36
                                        ; implicit-def: $vgpr7
; %bb.932:                              ;   in Loop: Header=BB8_662 Depth=1
	s_andn2_saveexec_b64 s[20:21], s[20:21]
; %bb.933:                              ;   in Loop: Header=BB8_662 Depth=1
	v_or_b32_e32 v6, 0x10000, v7
	v_cmp_eq_u32_sdwa vcc, v7, v3 src0_sel:WORD_0 src1_sel:DWORD
	v_cndmask_b32_e32 v6, v6, v7, vcc
; %bb.934:                              ;   in Loop: Header=BB8_662 Depth=1
	s_or_b64 exec, exec, s[20:21]
	v_and_b32_e32 v7, 0xffff0000, v17
	v_and_b32_e32 v8, 0xffff0000, v13
	v_add_f32_e32 v8, v8, v7
	v_and_b32_e32 v7, 0x7f800000, v8
	v_cmp_ne_u32_e32 vcc, s35, v7
                                        ; implicit-def: $vgpr7
	s_and_saveexec_b64 s[20:21], vcc
	s_xor_b64 s[20:21], exec, s[20:21]
; %bb.935:                              ;   in Loop: Header=BB8_662 Depth=1
	v_bfe_u32 v7, v8, 16, 1
	v_add3_u32 v7, v8, v7, s36
                                        ; implicit-def: $vgpr8
; %bb.936:                              ;   in Loop: Header=BB8_662 Depth=1
	s_andn2_saveexec_b64 s[20:21], s[20:21]
; %bb.937:                              ;   in Loop: Header=BB8_662 Depth=1
	v_or_b32_e32 v7, 0x10000, v8
	v_cmp_eq_u32_sdwa vcc, v8, v3 src0_sel:WORD_0 src1_sel:DWORD
	v_cndmask_b32_e32 v7, v7, v8, vcc
; %bb.938:                              ;   in Loop: Header=BB8_662 Depth=1
	s_or_b64 exec, exec, s[20:21]
	v_lshrrev_b32_e32 v0, 16, v0
	v_and_or_b32 v16, v1, s37, v0
	v_lshrrev_b32_e32 v0, 16, v4
	v_lshrrev_b32_e32 v8, 16, v18
	v_and_or_b32 v18, v5, s37, v0
	v_lshrrev_b32_e32 v0, 16, v19
	v_and_or_b32 v19, v20, s37, v0
	;; [unrolled: 2-line block ×4, first 2 shown]
	v_and_or_b32 v8, v10, s37, v0
	v_lshrrev_b32_e32 v0, 16, v15
	v_and_or_b32 v10, v12, s37, v0
	v_lshrrev_b32_e32 v0, 16, v6
	v_and_or_b32 v11, v7, s37, v0
	global_store_dwordx4 v[61:62], v[16:19], off glc slc
	global_store_dwordx4 v[61:62], v[8:11], off offset:1024 glc slc
.LBB8_939:                              ;   in Loop: Header=BB8_662 Depth=1
	s_or_b64 exec, exec, s[18:19]
	s_waitcnt vmcnt(0)
	v_lshlrev_b32_e32 v0, 11, v29
	v_cmp_ne_u32_e32 vcc, v52, v0
                                        ; implicit-def: $vgpr15
                                        ; implicit-def: $vgpr16
                                        ; implicit-def: $vgpr2
	s_and_saveexec_b64 s[60:61], vcc
	s_cbranch_execz .LBB8_1054
; %bb.940:                              ;   in Loop: Header=BB8_662 Depth=1
	buffer_load_dword v2, off, s[0:3], s33 offset:260 ; 4-byte Folded Reload
	v_lshlrev_b32_e32 v1, 6, v47
	v_sub_u32_e32 v4, v52, v0
	s_mov_b64 s[72:73], 0
	s_waitcnt vmcnt(0)
	v_sub_u32_e32 v1, v2, v1
	v_ashrrev_i32_e32 v2, 31, v1
	v_lshrrev_b32_e32 v2, 26, v2
	v_add_u32_e32 v2, v1, v2
	v_ashrrev_i32_e32 v5, 6, v2
	v_and_b32_e32 v2, 0xffffffc0, v2
	v_sub_u32_e32 v1, v1, v2
	v_lshlrev_b32_e32 v2, 4, v1
	v_lshl_add_u32 v6, v5, 10, v2
	v_add_u32_e32 v2, v6, v0
	v_sub_u32_e32 v15, v4, v6
	v_ashrrev_i32_e32 v6, 31, v4
	v_lshrrev_b32_e32 v6, 22, v6
	v_add_u32_e32 v6, v4, v6
	v_and_b32_e32 v12, 0xfffffc00, v6
	v_sub_u32_e32 v13, v4, v12
	v_ashrrev_i32_e32 v7, 10, v6
	v_cmp_lt_i32_e64 s[18:19], 15, v13
	v_addc_co_u32_e64 v6, vcc, 0, v7, s[18:19]
	v_sub_u32_e32 v14, v6, v5
	buffer_load_dword v5, off, s[0:3], s33 offset:244 ; 4-byte Folded Reload
	buffer_load_dword v6, off, s[0:3], s33 offset:248 ; 4-byte Folded Reload
	v_ashrrev_i32_e32 v4, 31, v2
	s_waitcnt vmcnt(1)
	v_add_co_u32_e32 v10, vcc, v2, v5
	s_waitcnt vmcnt(0)
	v_addc_co_u32_e32 v11, vcc, v4, v6, vcc
	v_cmp_lt_i32_e32 vcc, 15, v15
	s_and_saveexec_b64 s[62:63], vcc
	s_cbranch_execz .LBB8_1017
; %bb.941:                              ;   in Loop: Header=BB8_662 Depth=1
	s_trap 2
	ds_read_b64 v[5:6], v0
	buffer_load_dword v7, off, s[0:3], s33 offset:236 ; 4-byte Folded Reload
	buffer_load_dword v8, off, s[0:3], s33 offset:240 ; 4-byte Folded Reload
	s_mov_b64 s[76:77], 0
                                        ; implicit-def: $sgpr74_sgpr75
	s_waitcnt vmcnt(1)
	v_add_co_u32_e32 v16, vcc, v2, v7
	s_waitcnt vmcnt(0)
	v_addc_co_u32_e32 v17, vcc, v4, v8, vcc
	s_waitcnt lgkmcnt(0)
	v_add_co_u32_e32 v18, vcc, v5, v2
	v_addc_co_u32_e32 v19, vcc, v6, v4, vcc
	s_branch .LBB8_943
.LBB8_942:                              ;   in Loop: Header=BB8_943 Depth=2
	s_or_b64 exec, exec, s[20:21]
	v_cmp_gt_i32_e32 vcc, 16, v15
	s_or_b64 s[72:73], vcc, s[72:73]
	s_andn2_b64 s[20:21], s[74:75], exec
	s_and_b64 s[74:75], s[76:77], exec
	s_or_b64 s[74:75], s[20:21], s[74:75]
	s_andn2_b64 exec, exec, s[72:73]
	s_cbranch_execz .LBB8_1016
.LBB8_943:                              ;   Parent Loop BB8_662 Depth=1
                                        ; =>  This Loop Header: Depth=2
                                        ;       Child Loop BB8_944 Depth 3
                                        ;       Child Loop BB8_981 Depth 3
	s_lshr_b32 s90, s33, 6
	s_add_i32 s90, s90, 64
	s_mov_b64 s[78:79], -1
	s_mov_b64 s[88:89], 0
.LBB8_944:                              ;   Parent Loop BB8_662 Depth=1
                                        ;     Parent Loop BB8_943 Depth=2
                                        ; =>    This Inner Loop Header: Depth=3
	s_cmp_eq_u32 s88, 1
	s_cselect_b64 s[20:21], -1, 0
	v_cndmask_b32_e64 v9, v17, v19, s[20:21]
	v_cndmask_b32_e64 v8, v16, v18, s[20:21]
	global_load_dwordx4 v[4:7], v[8:9], off glc slc
	v_mov_b32_e32 v2, s90
	s_cmp_eq_u32 s88, 0
	s_mov_b64 s[88:89], 1
	s_mov_b32 s90, s31
	s_waitcnt vmcnt(0)
	buffer_store_dword v5, v2, s[0:3], 0 offen offset:4
	buffer_store_dword v4, v2, s[0:3], 0 offen
	buffer_store_dword v7, v2, s[0:3], 0 offen offset:12
	buffer_store_dword v6, v2, s[0:3], 0 offen offset:8
	v_add_co_u32_e32 v2, vcc, s34, v8
	v_addc_co_u32_e32 v4, vcc, 0, v9, vcc
	s_cselect_b64 vcc, -1, 0
	v_cndmask_b32_e32 v17, v17, v4, vcc
	v_cndmask_b32_e32 v16, v16, v2, vcc
	v_cndmask_b32_e64 v19, v19, v4, s[20:21]
	v_cndmask_b32_e64 v18, v18, v2, s[20:21]
	s_and_b64 vcc, exec, s[78:79]
	s_mov_b64 s[78:79], 0
	s_cbranch_vccnz .LBB8_944
; %bb.945:                              ;   in Loop: Header=BB8_943 Depth=2
	s_and_saveexec_b64 s[20:21], s[76:77]
	s_cbranch_execz .LBB8_979
; %bb.946:                              ;   in Loop: Header=BB8_943 Depth=2
	buffer_load_dword v6, off, s[0:3], s33 offset:96
	buffer_load_dword v24, off, s[0:3], s33 offset:100
	;; [unrolled: 1-line block ×8, first 2 shown]
	s_waitcnt vmcnt(7)
	v_lshlrev_b32_e32 v2, 16, v6
	s_waitcnt vmcnt(4)
	v_lshlrev_b32_e32 v8, 16, v7
	v_add_f32_e32 v8, v2, v8
	v_and_b32_e32 v2, 0x7f800000, v8
	v_cmp_ne_u32_e32 vcc, s35, v2
                                        ; implicit-def: $vgpr2
	s_and_saveexec_b64 s[76:77], vcc
	s_xor_b64 s[76:77], exec, s[76:77]
; %bb.947:                              ;   in Loop: Header=BB8_943 Depth=2
	v_bfe_u32 v2, v8, 16, 1
	v_add3_u32 v2, v8, v2, s36
                                        ; implicit-def: $vgpr8
; %bb.948:                              ;   in Loop: Header=BB8_943 Depth=2
	s_andn2_saveexec_b64 s[76:77], s[76:77]
; %bb.949:                              ;   in Loop: Header=BB8_943 Depth=2
	v_or_b32_e32 v2, 0x10000, v8
	v_cmp_eq_u32_sdwa vcc, v8, v3 src0_sel:WORD_0 src1_sel:DWORD
	v_cndmask_b32_e32 v2, v2, v8, vcc
; %bb.950:                              ;   in Loop: Header=BB8_943 Depth=2
	s_or_b64 exec, exec, s[76:77]
	v_and_b32_e32 v6, 0xffff0000, v6
	v_and_b32_e32 v7, 0xffff0000, v7
	v_add_f32_e32 v6, v6, v7
	v_and_b32_e32 v7, 0x7f800000, v6
	v_cmp_ne_u32_e32 vcc, s35, v7
                                        ; implicit-def: $vgpr20
	s_and_saveexec_b64 s[76:77], vcc
	s_xor_b64 s[76:77], exec, s[76:77]
; %bb.951:                              ;   in Loop: Header=BB8_943 Depth=2
	v_bfe_u32 v7, v6, 16, 1
	v_add3_u32 v20, v6, v7, s36
                                        ; implicit-def: $vgpr6
; %bb.952:                              ;   in Loop: Header=BB8_943 Depth=2
	s_andn2_saveexec_b64 s[76:77], s[76:77]
; %bb.953:                              ;   in Loop: Header=BB8_943 Depth=2
	v_or_b32_e32 v7, 0x10000, v6
	v_cmp_eq_u32_sdwa vcc, v6, v3 src0_sel:WORD_0 src1_sel:DWORD
	v_cndmask_b32_e32 v20, v7, v6, vcc
; %bb.954:                              ;   in Loop: Header=BB8_943 Depth=2
	s_or_b64 exec, exec, s[76:77]
	v_lshlrev_b32_e32 v6, 16, v24
	s_waitcnt vmcnt(3)
	v_lshlrev_b32_e32 v7, 16, v25
	v_add_f32_e32 v6, v6, v7
	v_and_b32_e32 v7, 0x7f800000, v6
	v_cmp_ne_u32_e32 vcc, s35, v7
                                        ; implicit-def: $vgpr21
	s_and_saveexec_b64 s[76:77], vcc
	s_xor_b64 s[76:77], exec, s[76:77]
; %bb.955:                              ;   in Loop: Header=BB8_943 Depth=2
	v_bfe_u32 v7, v6, 16, 1
	v_add3_u32 v21, v6, v7, s36
                                        ; implicit-def: $vgpr6
; %bb.956:                              ;   in Loop: Header=BB8_943 Depth=2
	s_andn2_saveexec_b64 s[76:77], s[76:77]
; %bb.957:                              ;   in Loop: Header=BB8_943 Depth=2
	v_or_b32_e32 v7, 0x10000, v6
	v_cmp_eq_u32_sdwa vcc, v6, v3 src0_sel:WORD_0 src1_sel:DWORD
	v_cndmask_b32_e32 v21, v7, v6, vcc
; %bb.958:                              ;   in Loop: Header=BB8_943 Depth=2
	s_or_b64 exec, exec, s[76:77]
	v_and_b32_e32 v6, 0xffff0000, v24
	v_and_b32_e32 v7, 0xffff0000, v25
	v_add_f32_e32 v6, v6, v7
	v_and_b32_e32 v7, 0x7f800000, v6
	v_cmp_ne_u32_e32 vcc, s35, v7
                                        ; implicit-def: $vgpr24
	s_and_saveexec_b64 s[76:77], vcc
	s_xor_b64 s[76:77], exec, s[76:77]
; %bb.959:                              ;   in Loop: Header=BB8_943 Depth=2
	v_bfe_u32 v7, v6, 16, 1
	v_add3_u32 v24, v6, v7, s36
                                        ; implicit-def: $vgpr6
; %bb.960:                              ;   in Loop: Header=BB8_943 Depth=2
	s_andn2_saveexec_b64 s[76:77], s[76:77]
; %bb.961:                              ;   in Loop: Header=BB8_943 Depth=2
	v_or_b32_e32 v7, 0x10000, v6
	v_cmp_eq_u32_sdwa vcc, v6, v3 src0_sel:WORD_0 src1_sel:DWORD
	v_cndmask_b32_e32 v24, v7, v6, vcc
; %bb.962:                              ;   in Loop: Header=BB8_943 Depth=2
	s_or_b64 exec, exec, s[76:77]
	v_lshlrev_b32_e32 v6, 16, v22
	s_waitcnt vmcnt(2)
	v_lshlrev_b32_e32 v7, 16, v23
	v_add_f32_e32 v6, v6, v7
	v_and_b32_e32 v7, 0x7f800000, v6
	v_cmp_ne_u32_e32 vcc, s35, v7
                                        ; implicit-def: $vgpr25
	s_and_saveexec_b64 s[76:77], vcc
	s_xor_b64 s[76:77], exec, s[76:77]
; %bb.963:                              ;   in Loop: Header=BB8_943 Depth=2
	v_bfe_u32 v7, v6, 16, 1
	v_add3_u32 v25, v6, v7, s36
                                        ; implicit-def: $vgpr6
; %bb.964:                              ;   in Loop: Header=BB8_943 Depth=2
	s_andn2_saveexec_b64 s[76:77], s[76:77]
; %bb.965:                              ;   in Loop: Header=BB8_943 Depth=2
	v_or_b32_e32 v7, 0x10000, v6
	v_cmp_eq_u32_sdwa vcc, v6, v3 src0_sel:WORD_0 src1_sel:DWORD
	v_cndmask_b32_e32 v25, v7, v6, vcc
; %bb.966:                              ;   in Loop: Header=BB8_943 Depth=2
	s_or_b64 exec, exec, s[76:77]
	v_and_b32_e32 v6, 0xffff0000, v22
	v_and_b32_e32 v7, 0xffff0000, v23
	v_add_f32_e32 v6, v6, v7
	v_and_b32_e32 v7, 0x7f800000, v6
	v_cmp_ne_u32_e32 vcc, s35, v7
                                        ; implicit-def: $vgpr22
	s_and_saveexec_b64 s[76:77], vcc
	s_xor_b64 s[76:77], exec, s[76:77]
; %bb.967:                              ;   in Loop: Header=BB8_943 Depth=2
	v_bfe_u32 v7, v6, 16, 1
	v_add3_u32 v22, v6, v7, s36
                                        ; implicit-def: $vgpr6
; %bb.968:                              ;   in Loop: Header=BB8_943 Depth=2
	s_andn2_saveexec_b64 s[76:77], s[76:77]
; %bb.969:                              ;   in Loop: Header=BB8_943 Depth=2
	v_or_b32_e32 v7, 0x10000, v6
	v_cmp_eq_u32_sdwa vcc, v6, v3 src0_sel:WORD_0 src1_sel:DWORD
	v_cndmask_b32_e32 v22, v7, v6, vcc
; %bb.970:                              ;   in Loop: Header=BB8_943 Depth=2
	s_or_b64 exec, exec, s[76:77]
	s_waitcnt vmcnt(0)
	v_lshlrev_b32_e32 v6, 16, v5
	v_lshlrev_b32_e32 v7, 16, v4
	v_add_f32_e32 v7, v6, v7
	v_and_b32_e32 v6, 0x7f800000, v7
	v_cmp_ne_u32_e32 vcc, s35, v6
                                        ; implicit-def: $vgpr6
	s_and_saveexec_b64 s[76:77], vcc
	s_xor_b64 s[76:77], exec, s[76:77]
; %bb.971:                              ;   in Loop: Header=BB8_943 Depth=2
	v_bfe_u32 v6, v7, 16, 1
	v_add3_u32 v6, v7, v6, s36
                                        ; implicit-def: $vgpr7
; %bb.972:                              ;   in Loop: Header=BB8_943 Depth=2
	s_andn2_saveexec_b64 s[76:77], s[76:77]
; %bb.973:                              ;   in Loop: Header=BB8_943 Depth=2
	v_or_b32_e32 v6, 0x10000, v7
	v_cmp_eq_u32_sdwa vcc, v7, v3 src0_sel:WORD_0 src1_sel:DWORD
	v_cndmask_b32_e32 v6, v6, v7, vcc
; %bb.974:                              ;   in Loop: Header=BB8_943 Depth=2
	s_or_b64 exec, exec, s[76:77]
	v_and_b32_e32 v5, 0xffff0000, v5
	v_and_b32_e32 v4, 0xffff0000, v4
	v_add_f32_e32 v5, v5, v4
	v_and_b32_e32 v4, 0x7f800000, v5
	v_cmp_ne_u32_e32 vcc, s35, v4
                                        ; implicit-def: $vgpr4
	s_and_saveexec_b64 s[76:77], vcc
	s_xor_b64 s[76:77], exec, s[76:77]
; %bb.975:                              ;   in Loop: Header=BB8_943 Depth=2
	v_bfe_u32 v4, v5, 16, 1
	v_add3_u32 v4, v5, v4, s36
                                        ; implicit-def: $vgpr5
; %bb.976:                              ;   in Loop: Header=BB8_943 Depth=2
	s_andn2_saveexec_b64 s[76:77], s[76:77]
; %bb.977:                              ;   in Loop: Header=BB8_943 Depth=2
	v_or_b32_e32 v4, 0x10000, v5
	v_cmp_eq_u32_sdwa vcc, v5, v3 src0_sel:WORD_0 src1_sel:DWORD
	v_cndmask_b32_e32 v4, v4, v5, vcc
; %bb.978:                              ;   in Loop: Header=BB8_943 Depth=2
	s_or_b64 exec, exec, s[76:77]
	v_lshrrev_b32_e32 v2, 16, v2
	v_and_or_b32 v20, v20, s37, v2
	v_lshrrev_b32_e32 v2, 16, v25
	v_lshrrev_b32_e32 v5, 16, v21
	v_and_or_b32 v22, v22, s37, v2
	v_lshrrev_b32_e32 v2, 16, v6
	v_and_or_b32 v21, v24, s37, v5
	v_and_or_b32 v23, v4, s37, v2
	buffer_store_dword v21, off, s[0:3], s33 offset:100
	buffer_store_dword v20, off, s[0:3], s33 offset:96
	;; [unrolled: 1-line block ×4, first 2 shown]
	global_store_dwordx4 v[10:11], v[20:23], off glc slc
	v_add_co_u32_e32 v10, vcc, v55, v10
	v_addc_co_u32_e32 v11, vcc, v54, v11, vcc
.LBB8_979:                              ;   in Loop: Header=BB8_943 Depth=2
	s_or_b64 exec, exec, s[20:21]
	buffer_load_dword v2, off, s[0:3], s33 offset:180 ; 4-byte Folded Reload
	buffer_load_dword v4, off, s[0:3], s33 offset:188 ; 4-byte Folded Reload
	v_sub_u32_e32 v15, v15, v28
	v_cmp_lt_i32_e64 s[76:77], 15, v15
	s_waitcnt vmcnt(1)
	v_add_co_u32_e32 v16, vcc, v16, v2
	s_waitcnt vmcnt(0)
	v_addc_co_u32_e32 v17, vcc, v17, v4, vcc
	v_add_co_u32_e32 v18, vcc, v18, v2
	v_addc_co_u32_e32 v19, vcc, v19, v4, vcc
	s_and_saveexec_b64 s[78:79], s[76:77]
	s_cbranch_execz .LBB8_982
; %bb.980:                              ;   in Loop: Header=BB8_943 Depth=2
	s_lshr_b32 s92, s33, 6
	s_addk_i32 s92, 0x60
	s_mov_b64 s[90:91], 0
	s_mov_b64 s[88:89], -1
.LBB8_981:                              ;   Parent Loop BB8_662 Depth=1
                                        ;     Parent Loop BB8_943 Depth=2
                                        ; =>    This Inner Loop Header: Depth=3
	s_cmp_eq_u32 s90, 1
	s_cselect_b64 s[20:21], -1, 0
	v_cndmask_b32_e64 v9, v17, v19, s[20:21]
	v_cndmask_b32_e64 v8, v16, v18, s[20:21]
	global_load_dwordx4 v[4:7], v[8:9], off glc slc
	v_mov_b32_e32 v2, s92
	s_cmp_eq_u32 s90, 0
	s_mov_b64 s[90:91], 1
	s_mov_b32 s92, s95
	s_waitcnt vmcnt(0)
	buffer_store_dword v5, v2, s[0:3], 0 offen offset:4
	buffer_store_dword v4, v2, s[0:3], 0 offen
	buffer_store_dword v7, v2, s[0:3], 0 offen offset:12
	buffer_store_dword v6, v2, s[0:3], 0 offen offset:8
	v_add_co_u32_e32 v2, vcc, s34, v8
	v_addc_co_u32_e32 v4, vcc, 0, v9, vcc
	s_cselect_b64 vcc, -1, 0
	v_cndmask_b32_e32 v17, v17, v4, vcc
	v_cndmask_b32_e32 v16, v16, v2, vcc
	v_cndmask_b32_e64 v19, v19, v4, s[20:21]
	v_cndmask_b32_e64 v18, v18, v2, s[20:21]
	s_and_b64 vcc, exec, s[88:89]
	s_mov_b64 s[88:89], 0
	s_cbranch_vccnz .LBB8_981
.LBB8_982:                              ;   in Loop: Header=BB8_943 Depth=2
	s_or_b64 exec, exec, s[78:79]
	buffer_load_dword v6, off, s[0:3], s33 offset:64
	buffer_load_dword v24, off, s[0:3], s33 offset:68
	;; [unrolled: 1-line block ×8, first 2 shown]
	s_waitcnt vmcnt(7)
	v_lshlrev_b32_e32 v2, 16, v6
	s_waitcnt vmcnt(4)
	v_lshlrev_b32_e32 v8, 16, v7
	v_add_f32_e32 v8, v2, v8
	v_and_b32_e32 v2, 0x7f800000, v8
	v_cmp_ne_u32_e32 vcc, s35, v2
                                        ; implicit-def: $vgpr2
	s_and_saveexec_b64 s[20:21], vcc
	s_xor_b64 s[20:21], exec, s[20:21]
; %bb.983:                              ;   in Loop: Header=BB8_943 Depth=2
	v_bfe_u32 v2, v8, 16, 1
	v_add3_u32 v2, v8, v2, s36
                                        ; implicit-def: $vgpr8
; %bb.984:                              ;   in Loop: Header=BB8_943 Depth=2
	s_andn2_saveexec_b64 s[20:21], s[20:21]
; %bb.985:                              ;   in Loop: Header=BB8_943 Depth=2
	v_or_b32_e32 v2, 0x10000, v8
	v_cmp_eq_u32_sdwa vcc, v8, v3 src0_sel:WORD_0 src1_sel:DWORD
	v_cndmask_b32_e32 v2, v2, v8, vcc
; %bb.986:                              ;   in Loop: Header=BB8_943 Depth=2
	s_or_b64 exec, exec, s[20:21]
	v_and_b32_e32 v6, 0xffff0000, v6
	v_and_b32_e32 v7, 0xffff0000, v7
	v_add_f32_e32 v6, v6, v7
	v_and_b32_e32 v7, 0x7f800000, v6
	v_cmp_ne_u32_e32 vcc, s35, v7
                                        ; implicit-def: $vgpr20
	s_and_saveexec_b64 s[20:21], vcc
	s_xor_b64 s[20:21], exec, s[20:21]
; %bb.987:                              ;   in Loop: Header=BB8_943 Depth=2
	v_bfe_u32 v7, v6, 16, 1
	v_add3_u32 v20, v6, v7, s36
                                        ; implicit-def: $vgpr6
; %bb.988:                              ;   in Loop: Header=BB8_943 Depth=2
	s_andn2_saveexec_b64 s[20:21], s[20:21]
; %bb.989:                              ;   in Loop: Header=BB8_943 Depth=2
	v_or_b32_e32 v7, 0x10000, v6
	v_cmp_eq_u32_sdwa vcc, v6, v3 src0_sel:WORD_0 src1_sel:DWORD
	v_cndmask_b32_e32 v20, v7, v6, vcc
; %bb.990:                              ;   in Loop: Header=BB8_943 Depth=2
	s_or_b64 exec, exec, s[20:21]
	v_lshlrev_b32_e32 v6, 16, v24
	s_waitcnt vmcnt(3)
	v_lshlrev_b32_e32 v7, 16, v25
	v_add_f32_e32 v6, v6, v7
	v_and_b32_e32 v7, 0x7f800000, v6
	v_cmp_ne_u32_e32 vcc, s35, v7
                                        ; implicit-def: $vgpr21
	s_and_saveexec_b64 s[20:21], vcc
	s_xor_b64 s[20:21], exec, s[20:21]
; %bb.991:                              ;   in Loop: Header=BB8_943 Depth=2
	v_bfe_u32 v7, v6, 16, 1
	v_add3_u32 v21, v6, v7, s36
                                        ; implicit-def: $vgpr6
; %bb.992:                              ;   in Loop: Header=BB8_943 Depth=2
	s_andn2_saveexec_b64 s[20:21], s[20:21]
; %bb.993:                              ;   in Loop: Header=BB8_943 Depth=2
	v_or_b32_e32 v7, 0x10000, v6
	v_cmp_eq_u32_sdwa vcc, v6, v3 src0_sel:WORD_0 src1_sel:DWORD
	v_cndmask_b32_e32 v21, v7, v6, vcc
; %bb.994:                              ;   in Loop: Header=BB8_943 Depth=2
	s_or_b64 exec, exec, s[20:21]
	v_and_b32_e32 v6, 0xffff0000, v24
	v_and_b32_e32 v7, 0xffff0000, v25
	v_add_f32_e32 v6, v6, v7
	v_and_b32_e32 v7, 0x7f800000, v6
	v_cmp_ne_u32_e32 vcc, s35, v7
                                        ; implicit-def: $vgpr24
	s_and_saveexec_b64 s[20:21], vcc
	s_xor_b64 s[20:21], exec, s[20:21]
; %bb.995:                              ;   in Loop: Header=BB8_943 Depth=2
	v_bfe_u32 v7, v6, 16, 1
	v_add3_u32 v24, v6, v7, s36
                                        ; implicit-def: $vgpr6
; %bb.996:                              ;   in Loop: Header=BB8_943 Depth=2
	s_andn2_saveexec_b64 s[20:21], s[20:21]
; %bb.997:                              ;   in Loop: Header=BB8_943 Depth=2
	v_or_b32_e32 v7, 0x10000, v6
	v_cmp_eq_u32_sdwa vcc, v6, v3 src0_sel:WORD_0 src1_sel:DWORD
	v_cndmask_b32_e32 v24, v7, v6, vcc
; %bb.998:                              ;   in Loop: Header=BB8_943 Depth=2
	s_or_b64 exec, exec, s[20:21]
	v_lshlrev_b32_e32 v6, 16, v22
	s_waitcnt vmcnt(2)
	v_lshlrev_b32_e32 v7, 16, v23
	v_add_f32_e32 v6, v6, v7
	v_and_b32_e32 v7, 0x7f800000, v6
	v_cmp_ne_u32_e32 vcc, s35, v7
                                        ; implicit-def: $vgpr25
	s_and_saveexec_b64 s[20:21], vcc
	s_xor_b64 s[20:21], exec, s[20:21]
; %bb.999:                              ;   in Loop: Header=BB8_943 Depth=2
	v_bfe_u32 v7, v6, 16, 1
	v_add3_u32 v25, v6, v7, s36
                                        ; implicit-def: $vgpr6
; %bb.1000:                             ;   in Loop: Header=BB8_943 Depth=2
	s_andn2_saveexec_b64 s[20:21], s[20:21]
; %bb.1001:                             ;   in Loop: Header=BB8_943 Depth=2
	v_or_b32_e32 v7, 0x10000, v6
	v_cmp_eq_u32_sdwa vcc, v6, v3 src0_sel:WORD_0 src1_sel:DWORD
	v_cndmask_b32_e32 v25, v7, v6, vcc
; %bb.1002:                             ;   in Loop: Header=BB8_943 Depth=2
	s_or_b64 exec, exec, s[20:21]
	v_and_b32_e32 v6, 0xffff0000, v22
	v_and_b32_e32 v7, 0xffff0000, v23
	v_add_f32_e32 v6, v6, v7
	v_and_b32_e32 v7, 0x7f800000, v6
	v_cmp_ne_u32_e32 vcc, s35, v7
                                        ; implicit-def: $vgpr22
	s_and_saveexec_b64 s[20:21], vcc
	s_xor_b64 s[20:21], exec, s[20:21]
; %bb.1003:                             ;   in Loop: Header=BB8_943 Depth=2
	v_bfe_u32 v7, v6, 16, 1
	v_add3_u32 v22, v6, v7, s36
                                        ; implicit-def: $vgpr6
; %bb.1004:                             ;   in Loop: Header=BB8_943 Depth=2
	s_andn2_saveexec_b64 s[20:21], s[20:21]
; %bb.1005:                             ;   in Loop: Header=BB8_943 Depth=2
	v_or_b32_e32 v7, 0x10000, v6
	v_cmp_eq_u32_sdwa vcc, v6, v3 src0_sel:WORD_0 src1_sel:DWORD
	v_cndmask_b32_e32 v22, v7, v6, vcc
; %bb.1006:                             ;   in Loop: Header=BB8_943 Depth=2
	s_or_b64 exec, exec, s[20:21]
	s_waitcnt vmcnt(0)
	v_lshlrev_b32_e32 v6, 16, v5
	v_lshlrev_b32_e32 v7, 16, v4
	v_add_f32_e32 v7, v6, v7
	v_and_b32_e32 v6, 0x7f800000, v7
	v_cmp_ne_u32_e32 vcc, s35, v6
                                        ; implicit-def: $vgpr6
	s_and_saveexec_b64 s[20:21], vcc
	s_xor_b64 s[20:21], exec, s[20:21]
; %bb.1007:                             ;   in Loop: Header=BB8_943 Depth=2
	v_bfe_u32 v6, v7, 16, 1
	v_add3_u32 v6, v7, v6, s36
                                        ; implicit-def: $vgpr7
; %bb.1008:                             ;   in Loop: Header=BB8_943 Depth=2
	s_andn2_saveexec_b64 s[20:21], s[20:21]
; %bb.1009:                             ;   in Loop: Header=BB8_943 Depth=2
	v_or_b32_e32 v6, 0x10000, v7
	v_cmp_eq_u32_sdwa vcc, v7, v3 src0_sel:WORD_0 src1_sel:DWORD
	v_cndmask_b32_e32 v6, v6, v7, vcc
; %bb.1010:                             ;   in Loop: Header=BB8_943 Depth=2
	s_or_b64 exec, exec, s[20:21]
	v_and_b32_e32 v5, 0xffff0000, v5
	v_and_b32_e32 v4, 0xffff0000, v4
	v_add_f32_e32 v5, v5, v4
	v_and_b32_e32 v4, 0x7f800000, v5
	v_cmp_ne_u32_e32 vcc, s35, v4
                                        ; implicit-def: $vgpr4
	s_and_saveexec_b64 s[20:21], vcc
	s_xor_b64 s[20:21], exec, s[20:21]
; %bb.1011:                             ;   in Loop: Header=BB8_943 Depth=2
	v_bfe_u32 v4, v5, 16, 1
	v_add3_u32 v4, v5, v4, s36
                                        ; implicit-def: $vgpr5
; %bb.1012:                             ;   in Loop: Header=BB8_943 Depth=2
	s_andn2_saveexec_b64 s[20:21], s[20:21]
; %bb.1013:                             ;   in Loop: Header=BB8_943 Depth=2
	v_or_b32_e32 v4, 0x10000, v5
	v_cmp_eq_u32_sdwa vcc, v5, v3 src0_sel:WORD_0 src1_sel:DWORD
	v_cndmask_b32_e32 v4, v4, v5, vcc
; %bb.1014:                             ;   in Loop: Header=BB8_943 Depth=2
	s_or_b64 exec, exec, s[20:21]
	v_lshrrev_b32_e32 v2, 16, v2
	v_and_or_b32 v20, v20, s37, v2
	v_lshrrev_b32_e32 v2, 16, v25
	v_lshrrev_b32_e32 v5, 16, v21
	v_and_or_b32 v22, v22, s37, v2
	v_lshrrev_b32_e32 v2, 16, v6
	v_and_or_b32 v21, v24, s37, v5
	v_and_or_b32 v23, v4, s37, v2
	buffer_store_dword v21, off, s[0:3], s33 offset:68
	buffer_store_dword v20, off, s[0:3], s33 offset:64
	;; [unrolled: 1-line block ×4, first 2 shown]
	global_store_dwordx4 v[10:11], v[20:23], off glc slc
	v_add_co_u32_e32 v10, vcc, 0x400, v10
	v_sub_u32_e32 v14, v14, v30
	v_addc_co_u32_e32 v11, vcc, 0, v11, vcc
	s_and_saveexec_b64 s[20:21], s[76:77]
	s_cbranch_execz .LBB8_942
; %bb.1015:                             ;   in Loop: Header=BB8_943 Depth=2
	buffer_load_dword v2, off, s[0:3], s33 offset:180 ; 4-byte Folded Reload
	buffer_load_dword v4, off, s[0:3], s33 offset:188 ; 4-byte Folded Reload
	v_sub_u32_e32 v15, v15, v28
	v_sub_u32_e32 v14, v14, v30
	s_waitcnt vmcnt(1)
	v_add_co_u32_e32 v16, vcc, v16, v2
	s_waitcnt vmcnt(0)
	v_addc_co_u32_e32 v17, vcc, v17, v4, vcc
	v_add_co_u32_e32 v18, vcc, v18, v2
	v_addc_co_u32_e32 v19, vcc, v19, v4, vcc
	v_add_co_u32_e32 v10, vcc, v10, v2
	v_addc_co_u32_e32 v11, vcc, v11, v4, vcc
	s_branch .LBB8_942
.LBB8_1016:                             ;   in Loop: Header=BB8_662 Depth=1
	s_or_b64 exec, exec, s[72:73]
	s_and_b64 s[72:73], s[74:75], exec
.LBB8_1017:                             ;   in Loop: Header=BB8_662 Depth=1
	s_or_b64 exec, exec, s[62:63]
	s_and_saveexec_b64 s[20:21], s[72:73]
	s_cbranch_execz .LBB8_1051
; %bb.1018:                             ;   in Loop: Header=BB8_662 Depth=1
	buffer_load_dword v6, off, s[0:3], s33 offset:96
	buffer_load_dword v19, off, s[0:3], s33 offset:100
	;; [unrolled: 1-line block ×8, first 2 shown]
	s_waitcnt vmcnt(7)
	v_lshlrev_b32_e32 v2, 16, v6
	s_waitcnt vmcnt(4)
	v_lshlrev_b32_e32 v8, 16, v7
	v_add_f32_e32 v8, v2, v8
	v_and_b32_e32 v2, 0x7f800000, v8
	v_cmp_ne_u32_e32 vcc, s35, v2
                                        ; implicit-def: $vgpr2
	s_and_saveexec_b64 s[62:63], vcc
	s_xor_b64 s[62:63], exec, s[62:63]
; %bb.1019:                             ;   in Loop: Header=BB8_662 Depth=1
	v_bfe_u32 v2, v8, 16, 1
	v_add3_u32 v2, v8, v2, s36
                                        ; implicit-def: $vgpr8
; %bb.1020:                             ;   in Loop: Header=BB8_662 Depth=1
	s_andn2_saveexec_b64 s[62:63], s[62:63]
; %bb.1021:                             ;   in Loop: Header=BB8_662 Depth=1
	v_or_b32_e32 v2, 0x10000, v8
	v_cmp_eq_u32_sdwa vcc, v8, v3 src0_sel:WORD_0 src1_sel:DWORD
	v_cndmask_b32_e32 v2, v2, v8, vcc
; %bb.1022:                             ;   in Loop: Header=BB8_662 Depth=1
	s_or_b64 exec, exec, s[62:63]
	v_and_b32_e32 v6, 0xffff0000, v6
	v_and_b32_e32 v7, 0xffff0000, v7
	v_add_f32_e32 v6, v6, v7
	v_and_b32_e32 v7, 0x7f800000, v6
	v_cmp_ne_u32_e32 vcc, s35, v7
                                        ; implicit-def: $vgpr15
	s_and_saveexec_b64 s[62:63], vcc
	s_xor_b64 s[62:63], exec, s[62:63]
; %bb.1023:                             ;   in Loop: Header=BB8_662 Depth=1
	v_bfe_u32 v7, v6, 16, 1
	v_add3_u32 v15, v6, v7, s36
                                        ; implicit-def: $vgpr6
; %bb.1024:                             ;   in Loop: Header=BB8_662 Depth=1
	s_andn2_saveexec_b64 s[62:63], s[62:63]
; %bb.1025:                             ;   in Loop: Header=BB8_662 Depth=1
	v_or_b32_e32 v7, 0x10000, v6
	v_cmp_eq_u32_sdwa vcc, v6, v3 src0_sel:WORD_0 src1_sel:DWORD
	v_cndmask_b32_e32 v15, v7, v6, vcc
; %bb.1026:                             ;   in Loop: Header=BB8_662 Depth=1
	s_or_b64 exec, exec, s[62:63]
	v_lshlrev_b32_e32 v6, 16, v19
	s_waitcnt vmcnt(3)
	v_lshlrev_b32_e32 v7, 16, v20
	v_add_f32_e32 v6, v6, v7
	v_and_b32_e32 v7, 0x7f800000, v6
	v_cmp_ne_u32_e32 vcc, s35, v7
                                        ; implicit-def: $vgpr16
	s_and_saveexec_b64 s[62:63], vcc
	s_xor_b64 s[62:63], exec, s[62:63]
; %bb.1027:                             ;   in Loop: Header=BB8_662 Depth=1
	v_bfe_u32 v7, v6, 16, 1
	v_add3_u32 v16, v6, v7, s36
                                        ; implicit-def: $vgpr6
; %bb.1028:                             ;   in Loop: Header=BB8_662 Depth=1
	s_andn2_saveexec_b64 s[62:63], s[62:63]
; %bb.1029:                             ;   in Loop: Header=BB8_662 Depth=1
	v_or_b32_e32 v7, 0x10000, v6
	v_cmp_eq_u32_sdwa vcc, v6, v3 src0_sel:WORD_0 src1_sel:DWORD
	v_cndmask_b32_e32 v16, v7, v6, vcc
; %bb.1030:                             ;   in Loop: Header=BB8_662 Depth=1
	s_or_b64 exec, exec, s[62:63]
	v_and_b32_e32 v6, 0xffff0000, v19
	v_and_b32_e32 v7, 0xffff0000, v20
	v_add_f32_e32 v6, v6, v7
	v_and_b32_e32 v7, 0x7f800000, v6
	v_cmp_ne_u32_e32 vcc, s35, v7
                                        ; implicit-def: $vgpr19
	s_and_saveexec_b64 s[62:63], vcc
	s_xor_b64 s[62:63], exec, s[62:63]
; %bb.1031:                             ;   in Loop: Header=BB8_662 Depth=1
	v_bfe_u32 v7, v6, 16, 1
	v_add3_u32 v19, v6, v7, s36
                                        ; implicit-def: $vgpr6
; %bb.1032:                             ;   in Loop: Header=BB8_662 Depth=1
	s_andn2_saveexec_b64 s[62:63], s[62:63]
; %bb.1033:                             ;   in Loop: Header=BB8_662 Depth=1
	v_or_b32_e32 v7, 0x10000, v6
	v_cmp_eq_u32_sdwa vcc, v6, v3 src0_sel:WORD_0 src1_sel:DWORD
	v_cndmask_b32_e32 v19, v7, v6, vcc
; %bb.1034:                             ;   in Loop: Header=BB8_662 Depth=1
	s_or_b64 exec, exec, s[62:63]
	v_lshlrev_b32_e32 v6, 16, v17
	s_waitcnt vmcnt(2)
	v_lshlrev_b32_e32 v7, 16, v18
	v_add_f32_e32 v6, v6, v7
	v_and_b32_e32 v7, 0x7f800000, v6
	v_cmp_ne_u32_e32 vcc, s35, v7
                                        ; implicit-def: $vgpr20
	s_and_saveexec_b64 s[62:63], vcc
	s_xor_b64 s[62:63], exec, s[62:63]
; %bb.1035:                             ;   in Loop: Header=BB8_662 Depth=1
	v_bfe_u32 v7, v6, 16, 1
	v_add3_u32 v20, v6, v7, s36
                                        ; implicit-def: $vgpr6
; %bb.1036:                             ;   in Loop: Header=BB8_662 Depth=1
	s_andn2_saveexec_b64 s[62:63], s[62:63]
; %bb.1037:                             ;   in Loop: Header=BB8_662 Depth=1
	v_or_b32_e32 v7, 0x10000, v6
	v_cmp_eq_u32_sdwa vcc, v6, v3 src0_sel:WORD_0 src1_sel:DWORD
	v_cndmask_b32_e32 v20, v7, v6, vcc
; %bb.1038:                             ;   in Loop: Header=BB8_662 Depth=1
	s_or_b64 exec, exec, s[62:63]
	v_and_b32_e32 v6, 0xffff0000, v17
	v_and_b32_e32 v7, 0xffff0000, v18
	v_add_f32_e32 v6, v6, v7
	v_and_b32_e32 v7, 0x7f800000, v6
	v_cmp_ne_u32_e32 vcc, s35, v7
                                        ; implicit-def: $vgpr17
	s_and_saveexec_b64 s[62:63], vcc
	s_xor_b64 s[62:63], exec, s[62:63]
; %bb.1039:                             ;   in Loop: Header=BB8_662 Depth=1
	v_bfe_u32 v7, v6, 16, 1
	v_add3_u32 v17, v6, v7, s36
                                        ; implicit-def: $vgpr6
; %bb.1040:                             ;   in Loop: Header=BB8_662 Depth=1
	s_andn2_saveexec_b64 s[62:63], s[62:63]
; %bb.1041:                             ;   in Loop: Header=BB8_662 Depth=1
	v_or_b32_e32 v7, 0x10000, v6
	v_cmp_eq_u32_sdwa vcc, v6, v3 src0_sel:WORD_0 src1_sel:DWORD
	v_cndmask_b32_e32 v17, v7, v6, vcc
; %bb.1042:                             ;   in Loop: Header=BB8_662 Depth=1
	s_or_b64 exec, exec, s[62:63]
	s_waitcnt vmcnt(0)
	v_lshlrev_b32_e32 v6, 16, v5
	v_lshlrev_b32_e32 v7, 16, v4
	v_add_f32_e32 v7, v6, v7
	v_and_b32_e32 v6, 0x7f800000, v7
	v_cmp_ne_u32_e32 vcc, s35, v6
                                        ; implicit-def: $vgpr6
	s_and_saveexec_b64 s[62:63], vcc
	s_xor_b64 s[62:63], exec, s[62:63]
; %bb.1043:                             ;   in Loop: Header=BB8_662 Depth=1
	v_bfe_u32 v6, v7, 16, 1
	v_add3_u32 v6, v7, v6, s36
                                        ; implicit-def: $vgpr7
; %bb.1044:                             ;   in Loop: Header=BB8_662 Depth=1
	s_andn2_saveexec_b64 s[62:63], s[62:63]
; %bb.1045:                             ;   in Loop: Header=BB8_662 Depth=1
	v_or_b32_e32 v6, 0x10000, v7
	v_cmp_eq_u32_sdwa vcc, v7, v3 src0_sel:WORD_0 src1_sel:DWORD
	v_cndmask_b32_e32 v6, v6, v7, vcc
; %bb.1046:                             ;   in Loop: Header=BB8_662 Depth=1
	s_or_b64 exec, exec, s[62:63]
	v_and_b32_e32 v5, 0xffff0000, v5
	v_and_b32_e32 v4, 0xffff0000, v4
	v_add_f32_e32 v5, v5, v4
	v_and_b32_e32 v4, 0x7f800000, v5
	v_cmp_ne_u32_e32 vcc, s35, v4
                                        ; implicit-def: $vgpr4
	s_and_saveexec_b64 s[62:63], vcc
	s_xor_b64 s[62:63], exec, s[62:63]
; %bb.1047:                             ;   in Loop: Header=BB8_662 Depth=1
	v_bfe_u32 v4, v5, 16, 1
	v_add3_u32 v4, v5, v4, s36
                                        ; implicit-def: $vgpr5
; %bb.1048:                             ;   in Loop: Header=BB8_662 Depth=1
	s_andn2_saveexec_b64 s[62:63], s[62:63]
; %bb.1049:                             ;   in Loop: Header=BB8_662 Depth=1
	v_or_b32_e32 v4, 0x10000, v5
	v_cmp_eq_u32_sdwa vcc, v5, v3 src0_sel:WORD_0 src1_sel:DWORD
	v_cndmask_b32_e32 v4, v4, v5, vcc
; %bb.1050:                             ;   in Loop: Header=BB8_662 Depth=1
	s_or_b64 exec, exec, s[62:63]
	v_lshrrev_b32_e32 v2, 16, v2
	v_and_or_b32 v15, v15, s37, v2
	v_lshrrev_b32_e32 v2, 16, v20
	v_lshrrev_b32_e32 v5, 16, v16
	v_and_or_b32 v17, v17, s37, v2
	v_lshrrev_b32_e32 v2, 16, v6
	v_and_or_b32 v16, v19, s37, v5
	v_and_or_b32 v18, v4, s37, v2
	global_store_dwordx4 v[10:11], v[15:18], off glc slc
.LBB8_1051:                             ;   in Loop: Header=BB8_662 Depth=1
	s_or_b64 exec, exec, s[20:21]
	v_and_b32_e32 v4, 14, v52
	v_cndmask_b32_e64 v52, v13, v4, s[18:19]
	v_cmp_ne_u32_e32 vcc, 0, v52
	s_mov_b64 s[62:63], s[58:59]
                                        ; implicit-def: $vgpr15
                                        ; implicit-def: $vgpr16
                                        ; implicit-def: $vgpr2
	s_and_saveexec_b64 s[20:21], vcc
	s_cbranch_execz .LBB8_1053
; %bb.1052:                             ;   in Loop: Header=BB8_662 Depth=1
	v_sub_u32_e32 v2, v13, v4
	v_cndmask_b32_e64 v2, 0, v2, s[18:19]
	v_cmp_lt_i32_e32 vcc, 0, v14
	v_add3_u32 v15, v12, v0, v2
	v_cndmask_b32_e32 v0, 0, v30, vcc
	v_sub_u32_e32 v0, v0, v14
	v_lshl_add_u32 v0, v0, 6, v1
	v_ashrrev_i32_e32 v1, 31, v0
	v_lshrrev_b32_e32 v1, 26, v1
	v_add_u32_e32 v1, v0, v1
	v_ashrrev_i32_e32 v2, 6, v1
	v_and_b32_e32 v1, 0xffffffc0, v1
	v_sub_u32_e32 v16, v0, v1
	s_or_b64 s[62:63], s[58:59], exec
.LBB8_1053:                             ;   in Loop: Header=BB8_662 Depth=1
	s_or_b64 exec, exec, s[20:21]
	s_andn2_b64 s[18:19], s[58:59], exec
	s_and_b64 s[20:21], s[62:63], exec
	s_or_b64 s[58:59], s[18:19], s[20:21]
.LBB8_1054:                             ;   in Loop: Header=BB8_662 Depth=1
	s_or_b64 exec, exec, s[60:61]
	buffer_load_dword v38, off, s[0:3], s33 offset:192 ; 4-byte Folded Reload
	buffer_load_dword v39, off, s[0:3], s33 offset:196 ; 4-byte Folded Reload
	s_and_saveexec_b64 s[20:21], s[58:59]
	s_cbranch_execz .LBB8_1186
.LBB8_1055:                             ;   in Loop: Header=BB8_662 Depth=1
	v_lshlrev_b32_e32 v0, 10, v2
	s_waitcnt vmcnt(0)
	v_lshlrev_b32_e32 v1, 1, v16
	v_add3_u32 v7, v15, v1, v0
	v_ashrrev_i32_e32 v0, 31, v52
	v_lshrrev_b32_e32 v0, 22, v0
	v_add_u32_e32 v0, v52, v0
	v_ashrrev_i32_e32 v14, 10, v0
	buffer_load_dword v0, off, s[0:3], s33 offset:244 ; 4-byte Folded Reload
	buffer_load_dword v1, off, s[0:3], s33 offset:248 ; 4-byte Folded Reload
	v_ashrrev_i32_e32 v8, 31, v7
	v_sub_u32_e32 v17, v14, v2
	v_mov_b32_e32 v5, 0
	s_mov_b64 s[58:59], 0
	v_mov_b32_e32 v18, 0
	v_mov_b32_e32 v33, 0
	;; [unrolled: 1-line block ×13, first 2 shown]
	s_waitcnt vmcnt(1)
	v_add_co_u32_e32 v10, vcc, v0, v7
	s_waitcnt vmcnt(0)
	v_addc_co_u32_e32 v11, vcc, v1, v8, vcc
	v_cmp_lt_i32_e32 vcc, 0, v17
	v_mov_b32_e32 v0, 0
	v_mov_b32_e32 v1, 0
	s_and_saveexec_b64 s[18:19], vcc
	s_cbranch_execz .LBB8_1127
; %bb.1056:                             ;   in Loop: Header=BB8_662 Depth=1
	buffer_store_dword v52, off, s[0:3], s33 offset:252 ; 4-byte Folded Spill
	s_trap 2
	ds_read_b64 v[4:5], v0
	buffer_load_dword v0, off, s[0:3], s33 offset:236 ; 4-byte Folded Reload
	buffer_load_dword v1, off, s[0:3], s33 offset:240 ; 4-byte Folded Reload
	v_mov_b32_e32 v57, v51
	v_mov_b32_e32 v43, v50
	;; [unrolled: 1-line block ×3, first 2 shown]
	s_mov_b64 s[62:63], 0
	s_mov_b64 s[60:61], 0
                                        ; implicit-def: $sgpr58_sgpr59
                                        ; implicit-def: $vgpr53
                                        ; implicit-def: $vgpr50
                                        ; implicit-def: $vgpr38
                                        ; implicit-def: $vgpr35
                                        ; implicit-def: $vgpr32
                                        ; implicit-def: $vgpr28
                                        ; implicit-def: $vgpr27
                                        ; implicit-def: $vgpr26
                                        ; implicit-def: $vgpr18
                                        ; implicit-def: $vgpr19
                                        ; implicit-def: $vgpr20
                                        ; implicit-def: $vgpr21
                                        ; implicit-def: $vgpr22
                                        ; implicit-def: $vgpr23
                                        ; implicit-def: $vgpr24
                                        ; implicit-def: $vgpr25
	s_waitcnt vmcnt(1)
	v_add_co_u32_e32 v0, vcc, v7, v0
	s_waitcnt vmcnt(0)
	v_addc_co_u32_e32 v1, vcc, v8, v1, vcc
	s_waitcnt lgkmcnt(0)
	v_add_co_u32_e32 v12, vcc, v4, v7
	v_addc_co_u32_e32 v13, vcc, v5, v8, vcc
	s_branch .LBB8_1058
.LBB8_1057:                             ;   in Loop: Header=BB8_1058 Depth=2
	s_or_b64 exec, exec, s[72:73]
	flat_store_short_d16_hi v[10:11], v2 glc slc
	flat_store_short_d16_hi v[10:11], v5 offset:128 glc slc
	flat_store_short_d16_hi v[10:11], v17 offset:256 glc slc
	;; [unrolled: 1-line block ×7, first 2 shown]
	buffer_load_dword v6, off, s[0:3], s33 offset:180 ; 4-byte Folded Reload
	v_mov_b32_e32 v9, 0x400
	buffer_load_dword v7, off, s[0:3], s33 offset:188 ; 4-byte Folded Reload
	v_cndmask_b32_e64 v9, v9, v55, s[62:63]
	v_cndmask_b32_e64 v8, 0, v54, s[62:63]
	s_waitcnt vmcnt(0)
	v_add_co_u32_e32 v2, vcc, v0, v6
	v_addc_co_u32_e32 v5, vcc, v1, v7, vcc
	v_add_co_u32_e32 v6, vcc, v12, v6
	v_addc_co_u32_e32 v7, vcc, v13, v7, vcc
	v_add_co_u32_e32 v10, vcc, v10, v9
	v_cndmask_b32_e64 v0, v0, v2, s[62:63]
	v_cndmask_b32_e64 v2, 0, v30, s[62:63]
	v_addc_co_u32_e32 v11, vcc, v11, v8, vcc
	v_sub_u32_e32 v17, v4, v2
	v_cmp_gt_i32_e32 vcc, 1, v17
	s_or_b64 s[60:61], vcc, s[60:61]
	s_andn2_b64 s[58:59], s[58:59], exec
	s_and_b64 s[72:73], s[62:63], exec
	v_cndmask_b32_e64 v1, v1, v5, s[62:63]
	v_cndmask_b32_e64 v13, v13, v7, s[62:63]
	;; [unrolled: 1-line block ×3, first 2 shown]
	s_or_b64 s[58:59], s[58:59], s[72:73]
	s_andn2_b64 exec, exec, s[60:61]
	s_cbranch_execz .LBB8_1126
.LBB8_1058:                             ;   Parent Loop BB8_662 Depth=1
                                        ; =>  This Inner Loop Header: Depth=2
	flat_load_ushort v62, v[0:1] glc slc
	flat_load_ushort v56, v[0:1] offset:128 glc slc
	flat_load_ushort v46, v[0:1] offset:256 glc slc
	;; [unrolled: 1-line block ×7, first 2 shown]
	flat_load_ushort v2, v[12:13] glc slc
	flat_load_ushort v61, v[12:13] offset:128 glc slc
	flat_load_ushort v47, v[12:13] offset:256 glc slc
	;; [unrolled: 1-line block ×7, first 2 shown]
	s_and_saveexec_b64 s[72:73], s[62:63]
	s_cbranch_execz .LBB8_1092
; %bb.1059:                             ;   in Loop: Header=BB8_1058 Depth=2
	v_lshlrev_b32_e32 v4, 16, v53
	v_lshlrev_b32_e32 v5, 16, v18
	v_add_f32_e32 v5, v4, v5
	v_and_b32_e32 v4, 0x7f800000, v5
	v_cmp_ne_u32_e32 vcc, s35, v4
                                        ; implicit-def: $vgpr4
	s_and_saveexec_b64 s[62:63], vcc
	s_xor_b64 s[62:63], exec, s[62:63]
; %bb.1060:                             ;   in Loop: Header=BB8_1058 Depth=2
	v_bfe_u32 v4, v5, 16, 1
	v_add3_u32 v4, v5, v4, s36
                                        ; implicit-def: $vgpr5
; %bb.1061:                             ;   in Loop: Header=BB8_1058 Depth=2
	s_andn2_saveexec_b64 s[62:63], s[62:63]
; %bb.1062:                             ;   in Loop: Header=BB8_1058 Depth=2
	v_or_b32_e32 v4, 0x10000, v5
	v_cmp_eq_u32_sdwa vcc, v5, v3 src0_sel:WORD_0 src1_sel:DWORD
	v_cndmask_b32_e32 v4, v4, v5, vcc
; %bb.1063:                             ;   in Loop: Header=BB8_1058 Depth=2
	s_or_b64 exec, exec, s[62:63]
	v_lshlrev_b32_e32 v5, 16, v50
	v_lshlrev_b32_e32 v6, 16, v19
	v_add_f32_e32 v6, v5, v6
	v_and_b32_e32 v5, 0x7f800000, v6
	v_cmp_ne_u32_e32 vcc, s35, v5
                                        ; implicit-def: $vgpr5
	s_and_saveexec_b64 s[62:63], vcc
	s_xor_b64 s[62:63], exec, s[62:63]
; %bb.1064:                             ;   in Loop: Header=BB8_1058 Depth=2
	v_bfe_u32 v5, v6, 16, 1
	v_add3_u32 v5, v6, v5, s36
                                        ; implicit-def: $vgpr6
; %bb.1065:                             ;   in Loop: Header=BB8_1058 Depth=2
	s_andn2_saveexec_b64 s[62:63], s[62:63]
; %bb.1066:                             ;   in Loop: Header=BB8_1058 Depth=2
	v_or_b32_e32 v5, 0x10000, v6
	v_cmp_eq_u32_sdwa vcc, v6, v3 src0_sel:WORD_0 src1_sel:DWORD
	v_cndmask_b32_e32 v5, v5, v6, vcc
; %bb.1067:                             ;   in Loop: Header=BB8_1058 Depth=2
	s_or_b64 exec, exec, s[62:63]
	v_lshlrev_b32_e32 v6, 16, v38
	v_lshlrev_b32_e32 v7, 16, v20
	v_add_f32_e32 v6, v6, v7
	v_and_b32_e32 v7, 0x7f800000, v6
	v_cmp_ne_u32_e32 vcc, s35, v7
                                        ; implicit-def: $vgpr31
	s_and_saveexec_b64 s[62:63], vcc
	s_xor_b64 s[62:63], exec, s[62:63]
; %bb.1068:                             ;   in Loop: Header=BB8_1058 Depth=2
	v_bfe_u32 v7, v6, 16, 1
	v_add3_u32 v31, v6, v7, s36
                                        ; implicit-def: $vgpr6
; %bb.1069:                             ;   in Loop: Header=BB8_1058 Depth=2
	s_andn2_saveexec_b64 s[62:63], s[62:63]
; %bb.1070:                             ;   in Loop: Header=BB8_1058 Depth=2
	v_or_b32_e32 v7, 0x10000, v6
	v_cmp_eq_u32_sdwa vcc, v6, v3 src0_sel:WORD_0 src1_sel:DWORD
	v_cndmask_b32_e32 v31, v7, v6, vcc
; %bb.1071:                             ;   in Loop: Header=BB8_1058 Depth=2
	s_or_b64 exec, exec, s[62:63]
	v_lshlrev_b32_e32 v6, 16, v35
	v_lshlrev_b32_e32 v7, 16, v21
	v_add_f32_e32 v6, v6, v7
	v_and_b32_e32 v7, 0x7f800000, v6
	v_cmp_ne_u32_e32 vcc, s35, v7
                                        ; implicit-def: $vgpr35
	s_and_saveexec_b64 s[62:63], vcc
	s_xor_b64 s[62:63], exec, s[62:63]
; %bb.1072:                             ;   in Loop: Header=BB8_1058 Depth=2
	v_bfe_u32 v7, v6, 16, 1
	v_add3_u32 v35, v6, v7, s36
                                        ; implicit-def: $vgpr6
; %bb.1073:                             ;   in Loop: Header=BB8_1058 Depth=2
	s_andn2_saveexec_b64 s[62:63], s[62:63]
; %bb.1074:                             ;   in Loop: Header=BB8_1058 Depth=2
	v_or_b32_e32 v7, 0x10000, v6
	v_cmp_eq_u32_sdwa vcc, v6, v3 src0_sel:WORD_0 src1_sel:DWORD
	v_cndmask_b32_e32 v35, v7, v6, vcc
; %bb.1075:                             ;   in Loop: Header=BB8_1058 Depth=2
	s_or_b64 exec, exec, s[62:63]
	v_lshlrev_b32_e32 v6, 16, v32
	v_lshlrev_b32_e32 v7, 16, v22
	v_add_f32_e32 v6, v6, v7
	v_and_b32_e32 v7, 0x7f800000, v6
	v_cmp_ne_u32_e32 vcc, s35, v7
                                        ; implicit-def: $vgpr32
	s_and_saveexec_b64 s[62:63], vcc
	s_xor_b64 s[62:63], exec, s[62:63]
; %bb.1076:                             ;   in Loop: Header=BB8_1058 Depth=2
	v_bfe_u32 v7, v6, 16, 1
	v_add3_u32 v32, v6, v7, s36
                                        ; implicit-def: $vgpr6
; %bb.1077:                             ;   in Loop: Header=BB8_1058 Depth=2
	s_andn2_saveexec_b64 s[62:63], s[62:63]
; %bb.1078:                             ;   in Loop: Header=BB8_1058 Depth=2
	v_or_b32_e32 v7, 0x10000, v6
	v_cmp_eq_u32_sdwa vcc, v6, v3 src0_sel:WORD_0 src1_sel:DWORD
	v_cndmask_b32_e32 v32, v7, v6, vcc
; %bb.1079:                             ;   in Loop: Header=BB8_1058 Depth=2
	s_or_b64 exec, exec, s[62:63]
	v_lshlrev_b32_e32 v6, 16, v28
	v_lshlrev_b32_e32 v7, 16, v23
	v_add_f32_e32 v6, v6, v7
	v_and_b32_e32 v7, 0x7f800000, v6
	v_cmp_ne_u32_e32 vcc, s35, v7
                                        ; implicit-def: $vgpr28
	s_and_saveexec_b64 s[62:63], vcc
	s_xor_b64 s[62:63], exec, s[62:63]
; %bb.1080:                             ;   in Loop: Header=BB8_1058 Depth=2
	v_bfe_u32 v7, v6, 16, 1
	v_add3_u32 v28, v6, v7, s36
                                        ; implicit-def: $vgpr6
; %bb.1081:                             ;   in Loop: Header=BB8_1058 Depth=2
	s_andn2_saveexec_b64 s[62:63], s[62:63]
; %bb.1082:                             ;   in Loop: Header=BB8_1058 Depth=2
	v_or_b32_e32 v7, 0x10000, v6
	v_cmp_eq_u32_sdwa vcc, v6, v3 src0_sel:WORD_0 src1_sel:DWORD
	v_cndmask_b32_e32 v28, v7, v6, vcc
; %bb.1083:                             ;   in Loop: Header=BB8_1058 Depth=2
	s_or_b64 exec, exec, s[62:63]
	v_lshlrev_b32_e32 v6, 16, v27
	v_lshlrev_b32_e32 v7, 16, v24
	v_add_f32_e32 v7, v6, v7
	v_and_b32_e32 v6, 0x7f800000, v7
	v_cmp_ne_u32_e32 vcc, s35, v6
                                        ; implicit-def: $vgpr6
	s_and_saveexec_b64 s[62:63], vcc
	s_xor_b64 s[62:63], exec, s[62:63]
; %bb.1084:                             ;   in Loop: Header=BB8_1058 Depth=2
	v_bfe_u32 v6, v7, 16, 1
	v_add3_u32 v6, v7, v6, s36
                                        ; implicit-def: $vgpr7
; %bb.1085:                             ;   in Loop: Header=BB8_1058 Depth=2
	s_andn2_saveexec_b64 s[62:63], s[62:63]
; %bb.1086:                             ;   in Loop: Header=BB8_1058 Depth=2
	v_or_b32_e32 v6, 0x10000, v7
	v_cmp_eq_u32_sdwa vcc, v7, v3 src0_sel:WORD_0 src1_sel:DWORD
	v_cndmask_b32_e32 v6, v6, v7, vcc
; %bb.1087:                             ;   in Loop: Header=BB8_1058 Depth=2
	s_or_b64 exec, exec, s[62:63]
	v_lshlrev_b32_e32 v7, 16, v26
	v_lshlrev_b32_e32 v8, 16, v25
	v_add_f32_e32 v8, v7, v8
	v_and_b32_e32 v7, 0x7f800000, v8
	v_cmp_ne_u32_e32 vcc, s35, v7
                                        ; implicit-def: $vgpr7
	s_and_saveexec_b64 s[62:63], vcc
	s_xor_b64 s[62:63], exec, s[62:63]
; %bb.1088:                             ;   in Loop: Header=BB8_1058 Depth=2
	v_bfe_u32 v7, v8, 16, 1
	v_add3_u32 v7, v8, v7, s36
                                        ; implicit-def: $vgpr8
; %bb.1089:                             ;   in Loop: Header=BB8_1058 Depth=2
	s_andn2_saveexec_b64 s[62:63], s[62:63]
; %bb.1090:                             ;   in Loop: Header=BB8_1058 Depth=2
	v_or_b32_e32 v7, 0x10000, v8
	v_cmp_eq_u32_sdwa vcc, v8, v3 src0_sel:WORD_0 src1_sel:DWORD
	v_cndmask_b32_e32 v7, v7, v8, vcc
; %bb.1091:                             ;   in Loop: Header=BB8_1058 Depth=2
	s_or_b64 exec, exec, s[62:63]
	v_lshrrev_b32_e32 v53, 16, v4
	v_lshrrev_b32_e32 v27, 16, v6
	;; [unrolled: 1-line block ×8, first 2 shown]
	flat_store_short v[10:11], v53 glc slc
	flat_store_short v[10:11], v50 offset:128 glc slc
	flat_store_short v[10:11], v38 offset:256 glc slc
	;; [unrolled: 1-line block ×7, first 2 shown]
	v_add_co_u32_e32 v10, vcc, v10, v55
	v_addc_co_u32_e32 v11, vcc, v11, v54, vcc
.LBB8_1092:                             ;   in Loop: Header=BB8_1058 Depth=2
	s_or_b64 exec, exec, s[72:73]
	v_add_co_u32_e32 v0, vcc, v0, v55
	v_addc_co_u32_e32 v1, vcc, v1, v54, vcc
	v_add_co_u32_e32 v12, vcc, v12, v55
	v_sub_u32_e32 v4, v17, v30
	v_addc_co_u32_e32 v13, vcc, v13, v54, vcc
	v_cmp_lt_i32_e64 s[62:63], 0, v4
	s_and_saveexec_b64 s[72:73], s[62:63]
	s_cbranch_execz .LBB8_1094
; %bb.1093:                             ;   in Loop: Header=BB8_1058 Depth=2
	flat_load_ushort v53, v[0:1] glc slc
	flat_load_ushort v50, v[0:1] offset:128 glc slc
	flat_load_ushort v38, v[0:1] offset:256 glc slc
	;; [unrolled: 1-line block ×7, first 2 shown]
	flat_load_ushort v18, v[12:13] glc slc
	flat_load_ushort v19, v[12:13] offset:128 glc slc
	flat_load_ushort v20, v[12:13] offset:256 glc slc
	;; [unrolled: 1-line block ×7, first 2 shown]
	v_add_co_u32_e32 v0, vcc, 0x400, v0
	v_addc_co_u32_e32 v1, vcc, 0, v1, vcc
	v_add_co_u32_e32 v12, vcc, 0x400, v12
	v_addc_co_u32_e32 v13, vcc, 0, v13, vcc
.LBB8_1094:                             ;   in Loop: Header=BB8_1058 Depth=2
	s_or_b64 exec, exec, s[72:73]
	s_waitcnt vmcnt(0) lgkmcnt(0)
	v_lshlrev_b32_e32 v5, 16, v62
	v_lshlrev_b32_e32 v2, 16, v2
	v_add_f32_e32 v5, v5, v2
	v_and_b32_e32 v2, 0x7f800000, v5
	v_cmp_ne_u32_e32 vcc, s35, v2
                                        ; implicit-def: $vgpr2
	s_and_saveexec_b64 s[72:73], vcc
	s_xor_b64 s[72:73], exec, s[72:73]
; %bb.1095:                             ;   in Loop: Header=BB8_1058 Depth=2
	v_bfe_u32 v2, v5, 16, 1
	v_add3_u32 v2, v5, v2, s36
                                        ; implicit-def: $vgpr5
; %bb.1096:                             ;   in Loop: Header=BB8_1058 Depth=2
	s_andn2_saveexec_b64 s[72:73], s[72:73]
; %bb.1097:                             ;   in Loop: Header=BB8_1058 Depth=2
	v_or_b32_e32 v2, 0x10000, v5
	v_cmp_eq_u32_sdwa vcc, v5, v3 src0_sel:WORD_0 src1_sel:DWORD
	v_cndmask_b32_e32 v2, v2, v5, vcc
; %bb.1098:                             ;   in Loop: Header=BB8_1058 Depth=2
	s_or_b64 exec, exec, s[72:73]
	v_lshlrev_b32_e32 v5, 16, v56
	v_lshlrev_b32_e32 v6, 16, v61
	v_add_f32_e32 v6, v5, v6
	v_and_b32_e32 v5, 0x7f800000, v6
	v_cmp_ne_u32_e32 vcc, s35, v5
                                        ; implicit-def: $vgpr5
	s_and_saveexec_b64 s[72:73], vcc
	s_xor_b64 s[72:73], exec, s[72:73]
; %bb.1099:                             ;   in Loop: Header=BB8_1058 Depth=2
	v_bfe_u32 v5, v6, 16, 1
	v_add3_u32 v5, v6, v5, s36
                                        ; implicit-def: $vgpr6
; %bb.1100:                             ;   in Loop: Header=BB8_1058 Depth=2
	s_andn2_saveexec_b64 s[72:73], s[72:73]
; %bb.1101:                             ;   in Loop: Header=BB8_1058 Depth=2
	v_or_b32_e32 v5, 0x10000, v6
	v_cmp_eq_u32_sdwa vcc, v6, v3 src0_sel:WORD_0 src1_sel:DWORD
	v_cndmask_b32_e32 v5, v5, v6, vcc
; %bb.1102:                             ;   in Loop: Header=BB8_1058 Depth=2
	s_or_b64 exec, exec, s[72:73]
	v_lshlrev_b32_e32 v6, 16, v46
	v_lshlrev_b32_e32 v7, 16, v47
	v_add_f32_e32 v6, v6, v7
	v_and_b32_e32 v7, 0x7f800000, v6
	v_cmp_ne_u32_e32 vcc, s35, v7
                                        ; implicit-def: $vgpr17
	s_and_saveexec_b64 s[72:73], vcc
	s_xor_b64 s[72:73], exec, s[72:73]
; %bb.1103:                             ;   in Loop: Header=BB8_1058 Depth=2
	v_bfe_u32 v7, v6, 16, 1
	v_add3_u32 v17, v6, v7, s36
                                        ; implicit-def: $vgpr6
; %bb.1104:                             ;   in Loop: Header=BB8_1058 Depth=2
	s_andn2_saveexec_b64 s[72:73], s[72:73]
; %bb.1105:                             ;   in Loop: Header=BB8_1058 Depth=2
	v_or_b32_e32 v7, 0x10000, v6
	v_cmp_eq_u32_sdwa vcc, v6, v3 src0_sel:WORD_0 src1_sel:DWORD
	v_cndmask_b32_e32 v17, v7, v6, vcc
; %bb.1106:                             ;   in Loop: Header=BB8_1058 Depth=2
	s_or_b64 exec, exec, s[72:73]
	v_lshlrev_b32_e32 v6, 16, v51
	v_lshlrev_b32_e32 v7, 16, v52
	v_add_f32_e32 v6, v6, v7
	v_and_b32_e32 v7, 0x7f800000, v6
	v_cmp_ne_u32_e32 vcc, s35, v7
                                        ; implicit-def: $vgpr31
	s_and_saveexec_b64 s[72:73], vcc
	s_xor_b64 s[72:73], exec, s[72:73]
; %bb.1107:                             ;   in Loop: Header=BB8_1058 Depth=2
	v_bfe_u32 v7, v6, 16, 1
	v_add3_u32 v31, v6, v7, s36
                                        ; implicit-def: $vgpr6
; %bb.1108:                             ;   in Loop: Header=BB8_1058 Depth=2
	s_andn2_saveexec_b64 s[72:73], s[72:73]
; %bb.1109:                             ;   in Loop: Header=BB8_1058 Depth=2
	v_or_b32_e32 v7, 0x10000, v6
	v_cmp_eq_u32_sdwa vcc, v6, v3 src0_sel:WORD_0 src1_sel:DWORD
	v_cndmask_b32_e32 v31, v7, v6, vcc
; %bb.1110:                             ;   in Loop: Header=BB8_1058 Depth=2
	s_or_b64 exec, exec, s[72:73]
	v_lshlrev_b32_e32 v6, 16, v48
	v_lshlrev_b32_e32 v7, 16, v49
	v_add_f32_e32 v6, v6, v7
	v_and_b32_e32 v7, 0x7f800000, v6
	v_cmp_ne_u32_e32 vcc, s35, v7
                                        ; implicit-def: $vgpr48
	s_and_saveexec_b64 s[72:73], vcc
	s_xor_b64 s[72:73], exec, s[72:73]
; %bb.1111:                             ;   in Loop: Header=BB8_1058 Depth=2
	v_bfe_u32 v7, v6, 16, 1
	v_add3_u32 v48, v6, v7, s36
                                        ; implicit-def: $vgpr6
; %bb.1112:                             ;   in Loop: Header=BB8_1058 Depth=2
	s_andn2_saveexec_b64 s[72:73], s[72:73]
; %bb.1113:                             ;   in Loop: Header=BB8_1058 Depth=2
	v_or_b32_e32 v7, 0x10000, v6
	v_cmp_eq_u32_sdwa vcc, v6, v3 src0_sel:WORD_0 src1_sel:DWORD
	v_cndmask_b32_e32 v48, v7, v6, vcc
; %bb.1114:                             ;   in Loop: Header=BB8_1058 Depth=2
	s_or_b64 exec, exec, s[72:73]
	v_lshlrev_b32_e32 v6, 16, v37
	v_lshlrev_b32_e32 v7, 16, v39
	v_add_f32_e32 v6, v6, v7
	v_and_b32_e32 v7, 0x7f800000, v6
	v_cmp_ne_u32_e32 vcc, s35, v7
                                        ; implicit-def: $vgpr37
	s_and_saveexec_b64 s[72:73], vcc
	s_xor_b64 s[72:73], exec, s[72:73]
; %bb.1115:                             ;   in Loop: Header=BB8_1058 Depth=2
	v_bfe_u32 v7, v6, 16, 1
	v_add3_u32 v37, v6, v7, s36
                                        ; implicit-def: $vgpr6
; %bb.1116:                             ;   in Loop: Header=BB8_1058 Depth=2
	s_andn2_saveexec_b64 s[72:73], s[72:73]
; %bb.1117:                             ;   in Loop: Header=BB8_1058 Depth=2
	v_or_b32_e32 v7, 0x10000, v6
	v_cmp_eq_u32_sdwa vcc, v6, v3 src0_sel:WORD_0 src1_sel:DWORD
	v_cndmask_b32_e32 v37, v7, v6, vcc
; %bb.1118:                             ;   in Loop: Header=BB8_1058 Depth=2
	s_or_b64 exec, exec, s[72:73]
	v_lshlrev_b32_e32 v6, 16, v34
	v_lshlrev_b32_e32 v7, 16, v36
	v_add_f32_e32 v7, v6, v7
	v_and_b32_e32 v6, 0x7f800000, v7
	v_cmp_ne_u32_e32 vcc, s35, v6
                                        ; implicit-def: $vgpr6
	s_and_saveexec_b64 s[72:73], vcc
	s_xor_b64 s[72:73], exec, s[72:73]
; %bb.1119:                             ;   in Loop: Header=BB8_1058 Depth=2
	v_bfe_u32 v6, v7, 16, 1
	v_add3_u32 v6, v7, v6, s36
                                        ; implicit-def: $vgpr7
; %bb.1120:                             ;   in Loop: Header=BB8_1058 Depth=2
	s_andn2_saveexec_b64 s[72:73], s[72:73]
; %bb.1121:                             ;   in Loop: Header=BB8_1058 Depth=2
	v_or_b32_e32 v6, 0x10000, v7
	v_cmp_eq_u32_sdwa vcc, v7, v3 src0_sel:WORD_0 src1_sel:DWORD
	v_cndmask_b32_e32 v6, v6, v7, vcc
; %bb.1122:                             ;   in Loop: Header=BB8_1058 Depth=2
	s_or_b64 exec, exec, s[72:73]
	v_lshlrev_b32_e32 v7, 16, v29
	v_lshlrev_b32_e32 v8, 16, v33
	v_add_f32_e32 v8, v7, v8
	v_and_b32_e32 v7, 0x7f800000, v8
	v_cmp_ne_u32_e32 vcc, s35, v7
                                        ; implicit-def: $vgpr7
	s_and_saveexec_b64 s[72:73], vcc
	s_xor_b64 s[72:73], exec, s[72:73]
; %bb.1123:                             ;   in Loop: Header=BB8_1058 Depth=2
	v_bfe_u32 v7, v8, 16, 1
	v_add3_u32 v7, v8, v7, s36
                                        ; implicit-def: $vgpr8
; %bb.1124:                             ;   in Loop: Header=BB8_1058 Depth=2
	s_andn2_saveexec_b64 s[72:73], s[72:73]
	s_cbranch_execz .LBB8_1057
; %bb.1125:                             ;   in Loop: Header=BB8_1058 Depth=2
	v_or_b32_e32 v7, 0x10000, v8
	v_cmp_eq_u32_sdwa vcc, v8, v3 src0_sel:WORD_0 src1_sel:DWORD
	v_cndmask_b32_e32 v7, v7, v8, vcc
	s_branch .LBB8_1057
.LBB8_1126:                             ;   in Loop: Header=BB8_662 Depth=1
	s_or_b64 exec, exec, s[60:61]
	v_lshlrev_b32_e32 v36, 16, v19
	v_lshlrev_b32_e32 v33, 16, v38
	;; [unrolled: 1-line block ×6, first 2 shown]
	buffer_load_dword v38, off, s[0:3], s33 offset:192 ; 4-byte Folded Reload
	buffer_load_dword v39, off, s[0:3], s33 offset:196 ; 4-byte Folded Reload
	;; [unrolled: 1-line block ×10, first 2 shown]
	v_lshlrev_b32_e32 v5, 16, v53
	v_lshlrev_b32_e32 v6, 16, v18
	;; [unrolled: 1-line block ×10, first 2 shown]
	s_and_b64 s[58:59], s[58:59], exec
	v_mov_b32_e32 v27, v42
	v_mov_b32_e32 v50, v43
	;; [unrolled: 1-line block ×3, first 2 shown]
.LBB8_1127:                             ;   in Loop: Header=BB8_662 Depth=1
	s_or_b64 exec, exec, s[18:19]
	s_and_saveexec_b64 s[18:19], s[58:59]
	s_cbranch_execz .LBB8_1161
; %bb.1128:                             ;   in Loop: Header=BB8_662 Depth=1
	v_add_f32_e32 v6, v6, v5
	v_and_b32_e32 v5, 0x7f800000, v6
	v_cmp_ne_u32_e32 vcc, s35, v5
                                        ; implicit-def: $vgpr5
	s_and_saveexec_b64 s[58:59], vcc
	s_xor_b64 s[58:59], exec, s[58:59]
; %bb.1129:                             ;   in Loop: Header=BB8_662 Depth=1
	v_bfe_u32 v5, v6, 16, 1
	v_add3_u32 v5, v6, v5, s36
                                        ; implicit-def: $vgpr6
; %bb.1130:                             ;   in Loop: Header=BB8_662 Depth=1
	s_andn2_saveexec_b64 s[58:59], s[58:59]
; %bb.1131:                             ;   in Loop: Header=BB8_662 Depth=1
	v_or_b32_e32 v5, 0x10000, v6
	v_cmp_eq_u32_sdwa vcc, v6, v3 src0_sel:WORD_0 src1_sel:DWORD
	v_cndmask_b32_e32 v5, v5, v6, vcc
; %bb.1132:                             ;   in Loop: Header=BB8_662 Depth=1
	s_or_b64 exec, exec, s[58:59]
	v_add_f32_e32 v6, v36, v18
	v_and_b32_e32 v7, 0x7f800000, v6
	v_cmp_ne_u32_e32 vcc, s35, v7
                                        ; implicit-def: $vgpr18
	s_and_saveexec_b64 s[58:59], vcc
	s_xor_b64 s[58:59], exec, s[58:59]
; %bb.1133:                             ;   in Loop: Header=BB8_662 Depth=1
	v_bfe_u32 v7, v6, 16, 1
	v_add3_u32 v18, v6, v7, s36
                                        ; implicit-def: $vgpr6
; %bb.1134:                             ;   in Loop: Header=BB8_662 Depth=1
	s_andn2_saveexec_b64 s[58:59], s[58:59]
; %bb.1135:                             ;   in Loop: Header=BB8_662 Depth=1
	v_or_b32_e32 v7, 0x10000, v6
	v_cmp_eq_u32_sdwa vcc, v6, v3 src0_sel:WORD_0 src1_sel:DWORD
	v_cndmask_b32_e32 v18, v7, v6, vcc
; %bb.1136:                             ;   in Loop: Header=BB8_662 Depth=1
	s_or_b64 exec, exec, s[58:59]
	v_add_f32_e32 v6, v34, v33
	v_and_b32_e32 v7, 0x7f800000, v6
	v_cmp_ne_u32_e32 vcc, s35, v7
                                        ; implicit-def: $vgpr21
	s_and_saveexec_b64 s[58:59], vcc
	s_xor_b64 s[58:59], exec, s[58:59]
; %bb.1137:                             ;   in Loop: Header=BB8_662 Depth=1
	v_bfe_u32 v7, v6, 16, 1
	v_add3_u32 v21, v6, v7, s36
                                        ; implicit-def: $vgpr6
; %bb.1138:                             ;   in Loop: Header=BB8_662 Depth=1
	s_andn2_saveexec_b64 s[58:59], s[58:59]
; %bb.1139:                             ;   in Loop: Header=BB8_662 Depth=1
	v_or_b32_e32 v7, 0x10000, v6
	v_cmp_eq_u32_sdwa vcc, v6, v3 src0_sel:WORD_0 src1_sel:DWORD
	v_cndmask_b32_e32 v21, v7, v6, vcc
; %bb.1140:                             ;   in Loop: Header=BB8_662 Depth=1
	s_or_b64 exec, exec, s[58:59]
	v_add_f32_e32 v6, v31, v29
	v_and_b32_e32 v7, 0x7f800000, v6
	v_cmp_ne_u32_e32 vcc, s35, v7
                                        ; implicit-def: $vgpr22
	s_and_saveexec_b64 s[58:59], vcc
	s_xor_b64 s[58:59], exec, s[58:59]
; %bb.1141:                             ;   in Loop: Header=BB8_662 Depth=1
	v_bfe_u32 v7, v6, 16, 1
	v_add3_u32 v22, v6, v7, s36
                                        ; implicit-def: $vgpr6
; %bb.1142:                             ;   in Loop: Header=BB8_662 Depth=1
	s_andn2_saveexec_b64 s[58:59], s[58:59]
; %bb.1143:                             ;   in Loop: Header=BB8_662 Depth=1
	v_or_b32_e32 v7, 0x10000, v6
	v_cmp_eq_u32_sdwa vcc, v6, v3 src0_sel:WORD_0 src1_sel:DWORD
	v_cndmask_b32_e32 v22, v7, v6, vcc
; %bb.1144:                             ;   in Loop: Header=BB8_662 Depth=1
	s_or_b64 exec, exec, s[58:59]
	v_add_f32_e32 v6, v20, v19
	v_and_b32_e32 v7, 0x7f800000, v6
	v_cmp_ne_u32_e32 vcc, s35, v7
                                        ; implicit-def: $vgpr19
	s_and_saveexec_b64 s[58:59], vcc
	s_xor_b64 s[58:59], exec, s[58:59]
; %bb.1145:                             ;   in Loop: Header=BB8_662 Depth=1
	v_bfe_u32 v7, v6, 16, 1
	v_add3_u32 v19, v6, v7, s36
                                        ; implicit-def: $vgpr6
; %bb.1146:                             ;   in Loop: Header=BB8_662 Depth=1
	s_andn2_saveexec_b64 s[58:59], s[58:59]
; %bb.1147:                             ;   in Loop: Header=BB8_662 Depth=1
	v_or_b32_e32 v7, 0x10000, v6
	v_cmp_eq_u32_sdwa vcc, v6, v3 src0_sel:WORD_0 src1_sel:DWORD
	v_cndmask_b32_e32 v19, v7, v6, vcc
; %bb.1148:                             ;   in Loop: Header=BB8_662 Depth=1
	s_or_b64 exec, exec, s[58:59]
	v_add_f32_e32 v7, v13, v12
	v_and_b32_e32 v6, 0x7f800000, v7
	v_cmp_ne_u32_e32 vcc, s35, v6
                                        ; implicit-def: $vgpr6
	s_and_saveexec_b64 s[58:59], vcc
	s_xor_b64 s[58:59], exec, s[58:59]
; %bb.1149:                             ;   in Loop: Header=BB8_662 Depth=1
	v_bfe_u32 v6, v7, 16, 1
	v_add3_u32 v6, v7, v6, s36
                                        ; implicit-def: $vgpr7
; %bb.1150:                             ;   in Loop: Header=BB8_662 Depth=1
	s_andn2_saveexec_b64 s[58:59], s[58:59]
; %bb.1151:                             ;   in Loop: Header=BB8_662 Depth=1
	v_or_b32_e32 v6, 0x10000, v7
	v_cmp_eq_u32_sdwa vcc, v7, v3 src0_sel:WORD_0 src1_sel:DWORD
	v_cndmask_b32_e32 v6, v6, v7, vcc
; %bb.1152:                             ;   in Loop: Header=BB8_662 Depth=1
	s_or_b64 exec, exec, s[58:59]
	v_add_f32_e32 v4, v4, v2
	v_and_b32_e32 v2, 0x7f800000, v4
	v_cmp_ne_u32_e32 vcc, s35, v2
                                        ; implicit-def: $vgpr2
	s_and_saveexec_b64 s[58:59], vcc
	s_xor_b64 s[58:59], exec, s[58:59]
; %bb.1153:                             ;   in Loop: Header=BB8_662 Depth=1
	v_bfe_u32 v2, v4, 16, 1
	v_add3_u32 v2, v4, v2, s36
                                        ; implicit-def: $vgpr4
; %bb.1154:                             ;   in Loop: Header=BB8_662 Depth=1
	s_andn2_saveexec_b64 s[58:59], s[58:59]
; %bb.1155:                             ;   in Loop: Header=BB8_662 Depth=1
	v_or_b32_e32 v2, 0x10000, v4
	v_cmp_eq_u32_sdwa vcc, v4, v3 src0_sel:WORD_0 src1_sel:DWORD
	v_cndmask_b32_e32 v2, v2, v4, vcc
; %bb.1156:                             ;   in Loop: Header=BB8_662 Depth=1
	s_or_b64 exec, exec, s[58:59]
	v_add_f32_e32 v1, v1, v0
	v_and_b32_e32 v0, 0x7f800000, v1
	v_cmp_ne_u32_e32 vcc, s35, v0
                                        ; implicit-def: $vgpr0
	s_and_saveexec_b64 s[58:59], vcc
	s_xor_b64 s[58:59], exec, s[58:59]
; %bb.1157:                             ;   in Loop: Header=BB8_662 Depth=1
	v_bfe_u32 v0, v1, 16, 1
	v_add3_u32 v0, v1, v0, s36
                                        ; implicit-def: $vgpr1
; %bb.1158:                             ;   in Loop: Header=BB8_662 Depth=1
	s_andn2_saveexec_b64 s[58:59], s[58:59]
; %bb.1159:                             ;   in Loop: Header=BB8_662 Depth=1
	v_or_b32_e32 v0, 0x10000, v1
	v_cmp_eq_u32_sdwa vcc, v1, v3 src0_sel:WORD_0 src1_sel:DWORD
	v_cndmask_b32_e32 v0, v0, v1, vcc
; %bb.1160:                             ;   in Loop: Header=BB8_662 Depth=1
	s_or_b64 exec, exec, s[58:59]
	flat_store_short_d16_hi v[10:11], v5 glc slc
	flat_store_short_d16_hi v[10:11], v18 offset:128 glc slc
	flat_store_short_d16_hi v[10:11], v21 offset:256 glc slc
	flat_store_short_d16_hi v[10:11], v22 offset:384 glc slc
	flat_store_short_d16_hi v[10:11], v19 offset:512 glc slc
	flat_store_short_d16_hi v[10:11], v6 offset:640 glc slc
	flat_store_short_d16_hi v[10:11], v2 offset:768 glc slc
	flat_store_short_d16_hi v[10:11], v0 offset:896 glc slc
.LBB8_1161:                             ;   in Loop: Header=BB8_662 Depth=1
	s_or_b64 exec, exec, s[18:19]
	v_lshlrev_b32_e32 v0, 10, v14
	s_waitcnt vmcnt(0)
	v_cmp_ne_u32_e32 vcc, v52, v0
	s_and_b64 exec, exec, vcc
	s_cbranch_execz .LBB8_1186
; %bb.1162:                             ;   in Loop: Header=BB8_662 Depth=1
	v_lshlrev_b32_e32 v1, 6, v17
	v_sub_u32_e32 v1, v16, v1
	v_ashrrev_i32_e32 v2, 31, v1
	v_lshrrev_b32_e32 v2, 26, v2
	v_add_u32_e32 v2, v1, v2
	v_and_b32_e32 v4, 0x7fffffc0, v2
	v_sub_u32_e32 v1, v1, v4
	v_lshlrev_b32_e32 v2, 1, v2
	v_and_b32_e32 v2, 0xffffff80, v2
	v_lshlrev_b32_e32 v1, 1, v1
	v_add3_u32 v0, v2, v1, v0
	v_sub_u32_e32 v2, v52, v0
	v_cmp_lt_i32_e32 vcc, 1, v2
	s_and_b64 exec, exec, vcc
	s_cbranch_execz .LBB8_1186
; %bb.1163:                             ;   in Loop: Header=BB8_662 Depth=1
	s_trap 2
	ds_read_b64 v[5:6], v0
	v_add_u32_e32 v4, v0, v15
	buffer_load_dword v0, off, s[0:3], s33 offset:244 ; 4-byte Folded Reload
	buffer_load_dword v1, off, s[0:3], s33 offset:248 ; 4-byte Folded Reload
	;; [unrolled: 1-line block ×4, first 2 shown]
	v_ashrrev_i32_e32 v7, 31, v4
	s_mov_b64 s[62:63], 0
	s_mov_b64 s[58:59], 0
                                        ; implicit-def: $sgpr60_sgpr61
	s_waitcnt vmcnt(0)
	v_add_co_u32_e32 v0, vcc, v0, v4
	v_addc_co_u32_e32 v1, vcc, v1, v7, vcc
	v_add_co_u32_e32 v11, vcc, v4, v8
	v_addc_co_u32_e32 v10, vcc, v7, v9, vcc
	s_waitcnt lgkmcnt(0)
	v_add_co_u32_e32 v5, vcc, v5, v4
	v_addc_co_u32_e32 v4, vcc, v6, v7, vcc
	s_branch .LBB8_1165
.LBB8_1164:                             ;   in Loop: Header=BB8_1165 Depth=2
	s_or_b64 exec, exec, s[18:19]
	v_lshrrev_b32_e32 v6, 16, v7
	buffer_store_short v6, off, s[0:3], s33 offset:64
	flat_store_short v[0:1], v6 glc slc
	v_add_co_u32_e32 v6, vcc, v11, v35
	v_addc_co_u32_e32 v7, vcc, v10, v37, vcc
	v_add_co_u32_e32 v8, vcc, v5, v35
	v_mov_b32_e32 v13, 0x80
	v_addc_co_u32_e32 v9, vcc, v4, v37, vcc
	v_cndmask_b32_e64 v13, v13, v48, s[62:63]
	v_cndmask_b32_e64 v12, 0, v49, s[62:63]
	v_add_co_u32_e32 v0, vcc, v0, v13
	v_cndmask_b32_e64 v11, v11, v6, s[62:63]
	v_cndmask_b32_e64 v6, 0, v32, s[62:63]
	v_addc_co_u32_e32 v1, vcc, v1, v12, vcc
	v_sub_u32_e32 v2, v2, v6
	v_cmp_gt_i32_e32 vcc, 2, v2
	s_or_b64 s[58:59], vcc, s[58:59]
	s_andn2_b64 s[18:19], s[60:61], exec
	s_and_b64 s[60:61], s[62:63], exec
	v_cndmask_b32_e64 v4, v4, v9, s[62:63]
	v_cndmask_b32_e64 v5, v5, v8, s[62:63]
	;; [unrolled: 1-line block ×3, first 2 shown]
	s_or_b64 s[60:61], s[18:19], s[60:61]
	s_andn2_b64 exec, exec, s[58:59]
	s_cbranch_execz .LBB8_1180
.LBB8_1165:                             ;   Parent Loop BB8_662 Depth=1
                                        ; =>  This Loop Header: Depth=2
                                        ;       Child Loop BB8_1166 Depth 3
                                        ;       Child Loop BB8_1175 Depth 3
	s_lshr_b32 s76, s33, 6
	s_add_i32 s76, s76, 64
	s_mov_b64 s[72:73], -1
	s_mov_b64 s[74:75], 0
.LBB8_1166:                             ;   Parent Loop BB8_662 Depth=1
                                        ;     Parent Loop BB8_1165 Depth=2
                                        ; =>    This Inner Loop Header: Depth=3
	s_cmp_eq_u32 s74, 1
	s_cselect_b64 s[18:19], -1, 0
	v_cndmask_b32_e64 v7, v10, v4, s[18:19]
	v_cndmask_b32_e64 v6, v11, v5, s[18:19]
	flat_load_ushort v8, v[6:7] glc slc
	v_add_co_u32_e32 v6, vcc, 0x80, v6
	v_addc_co_u32_e32 v7, vcc, 0, v7, vcc
	s_cmp_eq_u32 s74, 0
	v_mov_b32_e32 v9, s76
	s_cselect_b64 vcc, -1, 0
	s_lshr_b32 s76, s33, 6
	s_addk_i32 s76, 0x60
	v_cndmask_b32_e64 v4, v4, v7, s[18:19]
	v_cndmask_b32_e64 v5, v5, v6, s[18:19]
	v_cndmask_b32_e32 v10, v10, v7, vcc
	v_cndmask_b32_e32 v11, v11, v6, vcc
	s_mov_b64 s[74:75], 1
	s_and_b64 vcc, exec, s[72:73]
	s_mov_b64 s[72:73], 0
	s_waitcnt vmcnt(0) lgkmcnt(0)
	buffer_store_short v8, v9, s[0:3], 0 offen
	s_cbranch_vccnz .LBB8_1166
; %bb.1167:                             ;   in Loop: Header=BB8_1165 Depth=2
	s_and_saveexec_b64 s[18:19], s[62:63]
	s_cbranch_execz .LBB8_1173
; %bb.1168:                             ;   in Loop: Header=BB8_1165 Depth=2
	buffer_load_ushort v6, off, s[0:3], s33 offset:62
	buffer_load_ushort v7, off, s[0:3], s33 offset:60
	s_waitcnt vmcnt(1)
	v_lshlrev_b32_e32 v6, 16, v6
	s_waitcnt vmcnt(0)
	v_lshlrev_b32_e32 v7, 16, v7
	v_add_f32_e32 v6, v7, v6
	v_and_b32_e32 v7, 0x7f800000, v6
	v_cmp_ne_u32_e32 vcc, s35, v7
                                        ; implicit-def: $vgpr7
	s_and_saveexec_b64 s[62:63], vcc
	s_xor_b64 s[62:63], exec, s[62:63]
; %bb.1169:                             ;   in Loop: Header=BB8_1165 Depth=2
	v_bfe_u32 v7, v6, 16, 1
	v_add3_u32 v7, v6, v7, s36
                                        ; implicit-def: $vgpr6
; %bb.1170:                             ;   in Loop: Header=BB8_1165 Depth=2
	s_andn2_saveexec_b64 s[62:63], s[62:63]
; %bb.1171:                             ;   in Loop: Header=BB8_1165 Depth=2
	v_or_b32_e32 v7, 0x10000, v6
	v_cmp_eq_u32_sdwa vcc, v6, v3 src0_sel:WORD_0 src1_sel:DWORD
	v_cndmask_b32_e32 v7, v7, v6, vcc
; %bb.1172:                             ;   in Loop: Header=BB8_1165 Depth=2
	s_or_b64 exec, exec, s[62:63]
	v_lshrrev_b32_e32 v6, 16, v7
	flat_store_short v[0:1], v6 glc slc
	v_add_co_u32_e32 v0, vcc, v0, v48
	v_addc_co_u32_e32 v1, vcc, v1, v49, vcc
	buffer_store_short v6, off, s[0:3], s33 offset:60
.LBB8_1173:                             ;   in Loop: Header=BB8_1165 Depth=2
	s_or_b64 exec, exec, s[18:19]
	v_add_co_u32_e32 v11, vcc, v11, v35
	v_addc_co_u32_e32 v10, vcc, v10, v37, vcc
	v_add_co_u32_e32 v5, vcc, v5, v35
	v_sub_u32_e32 v2, v2, v32
	v_addc_co_u32_e32 v4, vcc, v4, v37, vcc
	v_cmp_lt_i32_e64 s[62:63], 1, v2
	s_and_saveexec_b64 s[72:73], s[62:63]
	s_cbranch_execz .LBB8_1176
; %bb.1174:                             ;   in Loop: Header=BB8_1165 Depth=2
	s_lshr_b32 s78, s33, 6
	s_add_i32 s78, s78, 60
	s_mov_b64 s[76:77], 0
	s_mov_b64 s[74:75], -1
.LBB8_1175:                             ;   Parent Loop BB8_662 Depth=1
                                        ;     Parent Loop BB8_1165 Depth=2
                                        ; =>    This Inner Loop Header: Depth=3
	s_cmp_eq_u32 s76, 1
	s_cselect_b64 s[18:19], -1, 0
	v_cndmask_b32_e64 v7, v10, v4, s[18:19]
	v_cndmask_b32_e64 v6, v11, v5, s[18:19]
	flat_load_ushort v8, v[6:7] glc slc
	v_add_co_u32_e32 v6, vcc, 0x80, v6
	v_addc_co_u32_e32 v7, vcc, 0, v7, vcc
	s_cmp_eq_u32 s76, 0
	v_mov_b32_e32 v9, s78
	s_cselect_b64 vcc, -1, 0
	s_lshr_b32 s78, s33, 6
	s_add_i32 s78, s78, 62
	v_cndmask_b32_e32 v10, v10, v7, vcc
	v_cndmask_b32_e32 v11, v11, v6, vcc
	v_cndmask_b32_e64 v4, v4, v7, s[18:19]
	v_cndmask_b32_e64 v5, v5, v6, s[18:19]
	s_mov_b64 s[76:77], 1
	s_and_b64 vcc, exec, s[74:75]
	s_mov_b64 s[74:75], 0
	s_waitcnt vmcnt(0) lgkmcnt(0)
	buffer_store_short v8, v9, s[0:3], 0 offen
	s_cbranch_vccnz .LBB8_1175
.LBB8_1176:                             ;   in Loop: Header=BB8_1165 Depth=2
	s_or_b64 exec, exec, s[72:73]
	buffer_load_ushort v6, off, s[0:3], s33 offset:96
	buffer_load_ushort v7, off, s[0:3], s33 offset:64
	s_waitcnt vmcnt(0)
	v_lshlrev_b32_e32 v6, 16, v6
	v_lshlrev_b32_e32 v7, 16, v7
	v_add_f32_e32 v6, v7, v6
	v_and_b32_e32 v7, 0x7f800000, v6
	v_cmp_ne_u32_e32 vcc, s35, v7
                                        ; implicit-def: $vgpr7
	s_and_saveexec_b64 s[18:19], vcc
	s_xor_b64 s[18:19], exec, s[18:19]
; %bb.1177:                             ;   in Loop: Header=BB8_1165 Depth=2
	v_bfe_u32 v7, v6, 16, 1
	v_add3_u32 v7, v6, v7, s36
                                        ; implicit-def: $vgpr6
; %bb.1178:                             ;   in Loop: Header=BB8_1165 Depth=2
	s_andn2_saveexec_b64 s[18:19], s[18:19]
	s_cbranch_execz .LBB8_1164
; %bb.1179:                             ;   in Loop: Header=BB8_1165 Depth=2
	v_or_b32_e32 v7, 0x10000, v6
	v_cmp_eq_u32_sdwa vcc, v6, v3 src0_sel:WORD_0 src1_sel:DWORD
	v_cndmask_b32_e32 v7, v7, v6, vcc
	s_branch .LBB8_1164
.LBB8_1180:                             ;   in Loop: Header=BB8_662 Depth=1
	s_or_b64 exec, exec, s[58:59]
	s_and_b64 exec, exec, s[60:61]
	s_cbranch_execz .LBB8_1186
; %bb.1181:                             ;   in Loop: Header=BB8_662 Depth=1
	buffer_load_ushort v2, off, s[0:3], s33 offset:62
	buffer_load_ushort v4, off, s[0:3], s33 offset:60
	s_waitcnt vmcnt(0)
	v_lshlrev_b32_e32 v2, 16, v2
	v_lshlrev_b32_e32 v4, 16, v4
	v_add_f32_e32 v2, v4, v2
	v_and_b32_e32 v4, 0x7f800000, v2
	v_cmp_ne_u32_e32 vcc, s35, v4
                                        ; implicit-def: $vgpr4
	s_and_saveexec_b64 s[18:19], vcc
	s_xor_b64 s[18:19], exec, s[18:19]
; %bb.1182:                             ;   in Loop: Header=BB8_662 Depth=1
	v_bfe_u32 v4, v2, 16, 1
	v_add3_u32 v4, v2, v4, s36
                                        ; implicit-def: $vgpr2
; %bb.1183:                             ;   in Loop: Header=BB8_662 Depth=1
	s_andn2_saveexec_b64 s[18:19], s[18:19]
; %bb.1184:                             ;   in Loop: Header=BB8_662 Depth=1
	v_or_b32_e32 v4, 0x10000, v2
	v_cmp_eq_u32_sdwa vcc, v2, v3 src0_sel:WORD_0 src1_sel:DWORD
	v_cndmask_b32_e32 v4, v4, v2, vcc
; %bb.1185:                             ;   in Loop: Header=BB8_662 Depth=1
	s_or_b64 exec, exec, s[18:19]
	flat_store_short_d16_hi v[0:1], v4 glc slc
.LBB8_1186:                             ;   in Loop: Header=BB8_662 Depth=1
	s_or_b64 exec, exec, s[20:21]
	v_cmp_ne_u32_e64 s[18:19], 0, v51
	s_and_saveexec_b64 s[20:21], s[10:11]
	s_cbranch_execz .LBB8_1205
.LBB8_1187:                             ;   in Loop: Header=BB8_662 Depth=1
	s_and_saveexec_b64 s[58:59], s[40:41]
	s_xor_b64 s[58:59], exec, s[58:59]
	s_cbranch_execz .LBB8_1202
; %bb.1188:                             ;   in Loop: Header=BB8_662 Depth=1
	s_and_saveexec_b64 s[60:61], s[12:13]
	s_cbranch_execz .LBB8_1201
; %bb.1189:                             ;   in Loop: Header=BB8_662 Depth=1
	s_mov_b64 s[72:73], exec
	v_mbcnt_lo_u32_b32 v0, s72, 0
	v_mbcnt_hi_u32_b32 v0, s73, v0
	v_cmp_eq_u32_e32 vcc, 0, v0
	s_waitcnt vmcnt(0) lgkmcnt(0)
	buffer_wbinvl1_vol
	s_and_saveexec_b64 s[62:63], vcc
	s_cbranch_execz .LBB8_1191
; %bb.1190:                             ;   in Loop: Header=BB8_662 Depth=1
	s_bcnt1_i32_b64 s72, s[72:73]
	v_mov_b32_e32 v2, s72
	ds_add_u64 v0, v[2:3]
	s_trap 2
.LBB8_1191:                             ;   in Loop: Header=BB8_662 Depth=1
	s_or_b64 exec, exec, s[62:63]
	s_trap 2
	ds_read_b64 v[0:1], v0
	s_waitcnt lgkmcnt(0)
	buffer_load_dword v4, off, s[0:3], s33 offset:128 ; 4-byte Folded Reload
	buffer_load_dword v5, off, s[0:3], s33 offset:132 ; 4-byte Folded Reload
	s_waitcnt vmcnt(1)
	v_add_co_u32_e32 v4, vcc, v4, v30
	s_waitcnt vmcnt(0)
	v_addc_co_u32_e32 v5, vcc, 0, v5, vcc
	buffer_store_dword v4, off, s[0:3], s33 offset:128 ; 4-byte Folded Spill
	s_nop 0
	buffer_store_dword v5, off, s[0:3], s33 offset:132 ; 4-byte Folded Spill
	v_cmp_lt_u64_e32 vcc, v[0:1], v[4:5]
	s_and_saveexec_b64 s[62:63], vcc
	s_cbranch_execz .LBB8_1200
; %bb.1192:                             ;   in Loop: Header=BB8_662 Depth=1
	s_mov_b32 s92, 0
	s_mov_b64 s[72:73], 0
                                        ; implicit-def: $sgpr74_sgpr75
                                        ; implicit-def: $sgpr76_sgpr77
	s_branch .LBB8_1194
.LBB8_1193:                             ;   in Loop: Header=BB8_1194 Depth=2
	s_or_b64 exec, exec, s[88:89]
	s_and_b64 s[78:79], exec, s[90:91]
	s_or_b64 s[72:73], s[78:79], s[72:73]
	s_andn2_b64 s[74:75], s[74:75], exec
	s_and_b64 s[78:79], s[76:77], exec
	s_or_b64 s[74:75], s[74:75], s[78:79]
	s_andn2_b64 exec, exec, s[72:73]
	s_cbranch_execz .LBB8_1198
.LBB8_1194:                             ;   Parent Loop BB8_662 Depth=1
                                        ; =>  This Inner Loop Header: Depth=2
	s_add_i32 s92, s92, 1
	s_cmpk_lg_i32 s92, 0x2710
	s_cselect_b64 s[78:79], -1, 0
	s_and_b64 vcc, exec, s[78:79]
	s_cbranch_vccz .LBB8_1196
; %bb.1195:                             ;   in Loop: Header=BB8_1194 Depth=2
	s_mov_b64 s[90:91], -1
	s_or_b64 s[76:77], s[76:77], exec
	s_and_saveexec_b64 s[88:89], s[78:79]
	s_cbranch_execz .LBB8_1193
	s_branch .LBB8_1197
.LBB8_1196:                             ;   in Loop: Header=BB8_1194 Depth=2
	s_trap 2
	ds_read_b64 v[0:1], v0
	s_andn2_b64 s[78:79], s[78:79], exec
	s_mov_b32 s92, 0
	s_waitcnt vmcnt(0) lgkmcnt(0)
	flat_load_dword v0, v[0:1] glc
	s_waitcnt vmcnt(0) lgkmcnt(0)
	buffer_wbinvl1_vol
	v_cmp_eq_u32_e32 vcc, 0, v0
	s_and_b64 s[88:89], vcc, exec
	s_or_b64 s[78:79], s[78:79], s[88:89]
	s_mov_b64 s[90:91], -1
	s_or_b64 s[76:77], s[76:77], exec
	s_and_saveexec_b64 s[88:89], s[78:79]
	s_cbranch_execz .LBB8_1193
.LBB8_1197:                             ;   in Loop: Header=BB8_1194 Depth=2
	s_sleep 1
	s_trap 2
	ds_read_b64 v[0:1], v0
	s_waitcnt lgkmcnt(0)
	buffer_load_dword v4, off, s[0:3], s33 offset:128 ; 4-byte Folded Reload
	buffer_load_dword v5, off, s[0:3], s33 offset:132 ; 4-byte Folded Reload
	s_andn2_b64 s[76:77], s[76:77], exec
	s_waitcnt vmcnt(0)
	v_cmp_ge_u64_e32 vcc, v[0:1], v[4:5]
	s_orn2_b64 s[90:91], vcc, exec
	s_branch .LBB8_1193
.LBB8_1198:                             ;   in Loop: Header=BB8_662 Depth=1
	s_or_b64 exec, exec, s[72:73]
	s_and_saveexec_b64 s[72:73], s[74:75]
	s_xor_b64 s[72:73], exec, s[72:73]
	s_cbranch_execz .LBB8_1200
; %bb.1199:                             ;   in Loop: Header=BB8_662 Depth=1
	v_mov_b32_e32 v0, 1
	ds_write_b32 v0, v0
	s_trap 2
.LBB8_1200:                             ;   in Loop: Header=BB8_662 Depth=1
	s_or_b64 exec, exec, s[62:63]
	;;#ASMSTART
	s_wakeup
	;;#ASMEND
.LBB8_1201:                             ;   in Loop: Header=BB8_662 Depth=1
	s_or_b64 exec, exec, s[60:61]
.LBB8_1202:                             ;   in Loop: Header=BB8_662 Depth=1
	s_andn2_saveexec_b64 s[58:59], s[58:59]
	s_cbranch_execz .LBB8_1204
; %bb.1203:                             ;   in Loop: Header=BB8_662 Depth=1
	s_waitcnt vmcnt(0) lgkmcnt(0)
	buffer_wbinvl1_vol
	s_barrier
.LBB8_1204:                             ;   in Loop: Header=BB8_662 Depth=1
	s_or_b64 exec, exec, s[58:59]
.LBB8_1205:                             ;   in Loop: Header=BB8_662 Depth=1
	s_or_b64 exec, exec, s[20:21]
	v_and_b32_e32 v0, 16, v27
	v_cmp_ne_u32_e32 vcc, 0, v0
	s_and_b64 s[20:21], vcc, s[18:19]
	s_and_saveexec_b64 s[18:19], s[20:21]
	s_cbranch_execz .LBB8_1207
; %bb.1206:                             ;   in Loop: Header=BB8_662 Depth=1
	s_waitcnt vmcnt(0) lgkmcnt(0)
	buffer_wbinvl1_vol
.LBB8_1207:                             ;   in Loop: Header=BB8_662 Depth=1
	s_or_b64 exec, exec, s[18:19]
	v_and_b32_e32 v0, 32, v27
	v_cmp_ne_u32_e32 vcc, 0, v0
	s_and_saveexec_b64 s[18:19], vcc
	s_cbranch_execz .LBB8_1209
; %bb.1208:                             ;   in Loop: Header=BB8_662 Depth=1
	buffer_load_dword v4, off, s[0:3], s33 offset:136 ; 4-byte Folded Reload
	buffer_load_dword v5, off, s[0:3], s33 offset:140 ; 4-byte Folded Reload
	;; [unrolled: 1-line block ×4, first 2 shown]
	s_waitcnt vmcnt(0)
	v_add_co_u32_e32 v6, vcc, 1, v6
	v_addc_co_u32_e32 v7, vcc, 0, v7, vcc
	buffer_store_dword v4, off, s[0:3], s33 offset:136 ; 4-byte Folded Spill
	s_nop 0
	buffer_store_dword v5, off, s[0:3], s33 offset:140 ; 4-byte Folded Spill
	buffer_store_dword v6, off, s[0:3], s33 offset:144 ; 4-byte Folded Spill
	;; [unrolled: 1-line block ×3, first 2 shown]
	flat_store_dwordx2 v[40:41], v[6:7]
.LBB8_1209:                             ;   in Loop: Header=BB8_662 Depth=1
	s_or_b64 exec, exec, s[18:19]
	v_mov_b32_e32 v10, v50
.LBB8_1210:                             ;   in Loop: Header=BB8_662 Depth=1
	s_or_b64 exec, exec, s[56:57]
	s_and_saveexec_b64 s[20:21], s[46:47]
	s_cbranch_execz .LBB8_661
; %bb.1211:                             ;   in Loop: Header=BB8_662 Depth=1
	v_and_b32_e32 v0, 4, v27
	v_cmp_ne_u32_e32 vcc, 0, v0
	s_and_saveexec_b64 s[46:47], vcc
	s_cbranch_execz .LBB8_1233
; %bb.1212:                             ;   in Loop: Header=BB8_662 Depth=1
	buffer_load_dword v4, off, s[0:3], s33 offset:136 ; 4-byte Folded Reload
	buffer_load_dword v5, off, s[0:3], s33 offset:140 ; 4-byte Folded Reload
	;; [unrolled: 1-line block ×4, first 2 shown]
	s_waitcnt vmcnt(0)
	v_add_co_u32_e32 v0, vcc, 1, v6
	v_addc_co_u32_e32 v1, vcc, 0, v7, vcc
	v_cmp_lt_u64_e32 vcc, v[44:45], v[0:1]
	s_and_saveexec_b64 s[56:57], vcc
	s_cbranch_execz .LBB8_1224
; %bb.1213:                             ;   in Loop: Header=BB8_662 Depth=1
	v_and_b32_e32 v2, 64, v27
	s_mov_b32 s92, 0
	v_cmp_eq_u32_e32 vcc, 0, v2
	s_mov_b64 s[58:59], 0
                                        ; implicit-def: $sgpr60_sgpr61
                                        ; implicit-def: $sgpr62_sgpr63
                                        ; implicit-def: $sgpr72_sgpr73
	s_branch .LBB8_1217
.LBB8_1214:                             ;   in Loop: Header=BB8_1217 Depth=2
	s_waitcnt vmcnt(0) lgkmcnt(0)
	v_cmp_ge_u64_e64 s[18:19], v[44:45], v[0:1]
	s_or_b64 s[78:79], s[78:79], exec
	s_orn2_b64 s[76:77], s[18:19], exec
.LBB8_1215:                             ;   in Loop: Header=BB8_1217 Depth=2
	s_or_b64 exec, exec, s[90:91]
	s_andn2_b64 s[18:19], s[72:73], exec
	s_and_b64 s[72:73], s[78:79], exec
	s_or_b64 s[72:73], s[18:19], s[72:73]
	s_andn2_b64 s[18:19], s[62:63], exec
	s_and_b64 s[62:63], s[76:77], exec
	s_or_b64 s[62:63], s[18:19], s[62:63]
.LBB8_1216:                             ;   in Loop: Header=BB8_1217 Depth=2
	s_or_b64 exec, exec, s[74:75]
	s_and_b64 s[18:19], exec, s[62:63]
	s_or_b64 s[58:59], s[18:19], s[58:59]
	s_andn2_b64 s[18:19], s[60:61], exec
	s_and_b64 s[60:61], s[72:73], exec
	s_or_b64 s[60:61], s[18:19], s[60:61]
	s_andn2_b64 exec, exec, s[58:59]
	s_cbranch_execz .LBB8_1221
.LBB8_1217:                             ;   Parent Loop BB8_662 Depth=1
                                        ; =>  This Inner Loop Header: Depth=2
	s_sleep 1
	s_waitcnt vmcnt(0) lgkmcnt(0)
	flat_load_dwordx2 v[44:45], v[40:41] glc
	s_or_b64 s[72:73], s[72:73], exec
	s_or_b64 s[62:63], s[62:63], exec
                                        ; implicit-def: $vgpr2
	s_and_saveexec_b64 s[74:75], vcc
	s_cbranch_execz .LBB8_1216
; %bb.1218:                             ;   in Loop: Header=BB8_1217 Depth=2
	s_cmpk_lt_i32 s92, 0x270f
	s_cselect_b64 s[88:89], -1, 0
	s_cmpk_gt_i32 s92, 0x270e
	s_mov_b64 s[76:77], -1
	s_cbranch_scc0 .LBB8_1220
; %bb.1219:                             ;   in Loop: Header=BB8_1217 Depth=2
	s_trap 2
	ds_read_b64 v[4:5], v0
	s_andn2_b64 s[88:89], s[88:89], exec
	s_mov_b32 s92, 0
	s_mov_b64 s[78:79], 0
	s_waitcnt vmcnt(0) lgkmcnt(0)
	flat_load_dword v2, v[4:5] glc
	s_waitcnt vmcnt(0) lgkmcnt(0)
	buffer_wbinvl1_vol
	v_cmp_eq_u32_e64 s[18:19], 0, v2
	s_and_b64 s[18:19], s[18:19], exec
	s_or_b64 s[88:89], s[88:89], s[18:19]
	s_and_saveexec_b64 s[90:91], s[88:89]
	s_cbranch_execz .LBB8_1215
	s_branch .LBB8_1214
.LBB8_1220:                             ;   in Loop: Header=BB8_1217 Depth=2
	s_add_i32 s92, s92, 1
	s_mov_b64 s[78:79], -1
                                        ; implicit-def: $vgpr2
	s_and_saveexec_b64 s[90:91], s[88:89]
	s_cbranch_execz .LBB8_1215
	s_branch .LBB8_1214
.LBB8_1221:                             ;   in Loop: Header=BB8_662 Depth=1
	s_or_b64 exec, exec, s[58:59]
	s_xor_b64 s[18:19], s[60:61], -1
	s_and_saveexec_b64 s[58:59], s[18:19]
	s_xor_b64 s[18:19], exec, s[58:59]
	s_cbranch_execz .LBB8_1223
; %bb.1222:                             ;   in Loop: Header=BB8_662 Depth=1
	v_or_b32_e32 v27, 64, v27
	s_waitcnt lgkmcnt(0)
	ds_write_b32 v0, v2
	s_trap 2
.LBB8_1223:                             ;   in Loop: Header=BB8_662 Depth=1
	s_or_b64 exec, exec, s[18:19]
.LBB8_1224:                             ;   in Loop: Header=BB8_662 Depth=1
	s_or_b64 exec, exec, s[56:57]
	;;#ASMSTART
	s_wakeup
	;;#ASMEND
	buffer_load_dword v4, off, s[0:3], s33 offset:136 ; 4-byte Folded Reload
	buffer_load_dword v5, off, s[0:3], s33 offset:140 ; 4-byte Folded Reload
	;; [unrolled: 1-line block ×4, first 2 shown]
	v_and_b32_e32 v2, 0x100, v27
	v_cmp_ne_u32_e32 vcc, 0, v2
	s_mov_b64 s[18:19], -1
                                        ; implicit-def: $vgpr4_vgpr5
	s_waitcnt vmcnt(0)
	v_and_b32_e32 v2, 7, v6
	s_and_saveexec_b64 s[56:57], vcc
	s_cbranch_execz .LBB8_1228
; %bb.1225:                             ;   in Loop: Header=BB8_662 Depth=1
	buffer_load_dword v4, off, s[0:3], s33 offset:136 ; 4-byte Folded Reload
	buffer_load_dword v5, off, s[0:3], s33 offset:140 ; 4-byte Folded Reload
	;; [unrolled: 1-line block ×4, first 2 shown]
	s_waitcnt vmcnt(0)
	v_mad_u64_u32 v[8:9], s[18:19], v2, 24, v[4:5]
	flat_load_dword v4, v[8:9]
	s_waitcnt vmcnt(0) lgkmcnt(0)
	v_cmp_ne_u32_e32 vcc, 1, v4
	v_cmp_eq_u32_e64 s[18:19], 1, v4
                                        ; implicit-def: $vgpr4_vgpr5
	s_and_saveexec_b64 s[58:59], s[18:19]
	s_cbranch_execz .LBB8_1227
; %bb.1226:                             ;   in Loop: Header=BB8_662 Depth=1
	flat_load_dword v4, v[8:9] offset:4 glc
	s_waitcnt vmcnt(0) lgkmcnt(0)
	v_ashrrev_i32_e32 v5, 31, v4
	v_lshrrev_b64 v[4:5], 1, v[4:5]
.LBB8_1227:                             ;   in Loop: Header=BB8_662 Depth=1
	s_or_b64 exec, exec, s[58:59]
	s_orn2_b64 s[18:19], vcc, exec
.LBB8_1228:                             ;   in Loop: Header=BB8_662 Depth=1
	s_or_b64 exec, exec, s[56:57]
	s_and_saveexec_b64 s[56:57], s[18:19]
	s_cbranch_execz .LBB8_1230
; %bb.1229:                             ;   in Loop: Header=BB8_662 Depth=1
	buffer_load_dword v4, off, s[0:3], s33 offset:232 ; 4-byte Folded Reload
	s_waitcnt vmcnt(0)
	v_mad_i64_i32 v[4:5], s[18:19], v2, v4, 0
.LBB8_1230:                             ;   in Loop: Header=BB8_662 Depth=1
	s_or_b64 exec, exec, s[56:57]
	buffer_load_dword v6, off, s[0:3], s33 offset:200 ; 4-byte Folded Reload
	buffer_load_dword v7, off, s[0:3], s33 offset:204 ; 4-byte Folded Reload
	v_lshlrev_b64 v[4:5], 1, v[4:5]
	v_and_b32_e32 v2, 0x2000, v27
	s_waitcnt vmcnt(0)
	v_add_co_u32_e32 v4, vcc, v6, v4
	v_addc_co_u32_e32 v5, vcc, v7, v5, vcc
	v_cmp_ne_u32_e32 vcc, 0, v2
	ds_write_b64 v0, v[4:5] offset:728
	s_and_saveexec_b64 s[18:19], vcc
	s_cbranch_execz .LBB8_1232
; %bb.1231:                             ;   in Loop: Header=BB8_662 Depth=1
	ds_read_b64 v[4:5], v0 offset:872
	s_waitcnt lgkmcnt(0)
	v_add_co_u32_e32 v4, vcc, 1, v4
	v_addc_co_u32_e32 v5, vcc, 0, v5, vcc
	ds_write_b64 v0, v[4:5] offset:872
.LBB8_1232:                             ;   in Loop: Header=BB8_662 Depth=1
	s_or_b64 exec, exec, s[18:19]
	buffer_load_dword v4, off, s[0:3], s33 offset:136 ; 4-byte Folded Reload
	buffer_load_dword v5, off, s[0:3], s33 offset:140 ; 4-byte Folded Reload
	;; [unrolled: 1-line block ×4, first 2 shown]
	s_waitcnt vmcnt(0)
	v_mov_b32_e32 v7, v1
	v_mov_b32_e32 v6, v0
	buffer_store_dword v4, off, s[0:3], s33 offset:136 ; 4-byte Folded Spill
	s_nop 0
	buffer_store_dword v5, off, s[0:3], s33 offset:140 ; 4-byte Folded Spill
	buffer_store_dword v6, off, s[0:3], s33 offset:144 ; 4-byte Folded Spill
	;; [unrolled: 1-line block ×3, first 2 shown]
.LBB8_1233:                             ;   in Loop: Header=BB8_662 Depth=1
	s_or_b64 exec, exec, s[46:47]
	s_and_saveexec_b64 s[18:19], s[10:11]
	s_cbranch_execz .LBB8_1252
; %bb.1234:                             ;   in Loop: Header=BB8_662 Depth=1
	s_and_saveexec_b64 s[46:47], s[40:41]
	s_xor_b64 s[46:47], exec, s[46:47]
	s_cbranch_execz .LBB8_1249
; %bb.1235:                             ;   in Loop: Header=BB8_662 Depth=1
	s_and_saveexec_b64 s[56:57], s[12:13]
	s_cbranch_execz .LBB8_1248
; %bb.1236:                             ;   in Loop: Header=BB8_662 Depth=1
	s_mov_b64 s[60:61], exec
	v_mbcnt_lo_u32_b32 v0, s60, 0
	v_mbcnt_hi_u32_b32 v0, s61, v0
	v_cmp_eq_u32_e32 vcc, 0, v0
	s_waitcnt vmcnt(0) lgkmcnt(0)
	buffer_wbinvl1_vol
	s_and_saveexec_b64 s[58:59], vcc
	s_cbranch_execz .LBB8_1238
; %bb.1237:                             ;   in Loop: Header=BB8_662 Depth=1
	s_bcnt1_i32_b64 s60, s[60:61]
	v_mov_b32_e32 v2, s60
	ds_add_u64 v0, v[2:3]
	s_trap 2
.LBB8_1238:                             ;   in Loop: Header=BB8_662 Depth=1
	s_or_b64 exec, exec, s[58:59]
	s_trap 2
	ds_read_b64 v[0:1], v0
	s_waitcnt lgkmcnt(0)
	buffer_load_dword v4, off, s[0:3], s33 offset:128 ; 4-byte Folded Reload
	buffer_load_dword v5, off, s[0:3], s33 offset:132 ; 4-byte Folded Reload
	s_waitcnt vmcnt(1)
	v_add_co_u32_e32 v4, vcc, v4, v30
	s_waitcnt vmcnt(0)
	v_addc_co_u32_e32 v5, vcc, 0, v5, vcc
	buffer_store_dword v4, off, s[0:3], s33 offset:128 ; 4-byte Folded Spill
	s_nop 0
	buffer_store_dword v5, off, s[0:3], s33 offset:132 ; 4-byte Folded Spill
	v_cmp_lt_u64_e32 vcc, v[0:1], v[4:5]
	s_and_saveexec_b64 s[58:59], vcc
	s_cbranch_execz .LBB8_1247
; %bb.1239:                             ;   in Loop: Header=BB8_662 Depth=1
	s_mov_b32 s88, 0
	s_mov_b64 s[60:61], 0
                                        ; implicit-def: $sgpr62_sgpr63
                                        ; implicit-def: $sgpr72_sgpr73
	s_branch .LBB8_1241
.LBB8_1240:                             ;   in Loop: Header=BB8_1241 Depth=2
	s_or_b64 exec, exec, s[76:77]
	s_and_b64 s[74:75], exec, s[78:79]
	s_or_b64 s[60:61], s[74:75], s[60:61]
	s_andn2_b64 s[62:63], s[62:63], exec
	s_and_b64 s[74:75], s[72:73], exec
	s_or_b64 s[62:63], s[62:63], s[74:75]
	s_andn2_b64 exec, exec, s[60:61]
	s_cbranch_execz .LBB8_1245
.LBB8_1241:                             ;   Parent Loop BB8_662 Depth=1
                                        ; =>  This Inner Loop Header: Depth=2
	s_add_i32 s88, s88, 1
	s_cmpk_lg_i32 s88, 0x2710
	s_cselect_b64 s[74:75], -1, 0
	s_and_b64 vcc, exec, s[74:75]
	s_cbranch_vccz .LBB8_1243
; %bb.1242:                             ;   in Loop: Header=BB8_1241 Depth=2
	s_mov_b64 s[78:79], -1
	s_or_b64 s[72:73], s[72:73], exec
	s_and_saveexec_b64 s[76:77], s[74:75]
	s_cbranch_execz .LBB8_1240
	s_branch .LBB8_1244
.LBB8_1243:                             ;   in Loop: Header=BB8_1241 Depth=2
	s_trap 2
	ds_read_b64 v[0:1], v0
	s_andn2_b64 s[74:75], s[74:75], exec
	s_mov_b32 s88, 0
	s_waitcnt vmcnt(0) lgkmcnt(0)
	flat_load_dword v0, v[0:1] glc
	s_waitcnt vmcnt(0) lgkmcnt(0)
	buffer_wbinvl1_vol
	v_cmp_eq_u32_e32 vcc, 0, v0
	s_and_b64 s[76:77], vcc, exec
	s_or_b64 s[74:75], s[74:75], s[76:77]
	s_mov_b64 s[78:79], -1
	s_or_b64 s[72:73], s[72:73], exec
	s_and_saveexec_b64 s[76:77], s[74:75]
	s_cbranch_execz .LBB8_1240
.LBB8_1244:                             ;   in Loop: Header=BB8_1241 Depth=2
	s_sleep 1
	s_trap 2
	ds_read_b64 v[0:1], v0
	s_waitcnt lgkmcnt(0)
	buffer_load_dword v4, off, s[0:3], s33 offset:128 ; 4-byte Folded Reload
	buffer_load_dword v5, off, s[0:3], s33 offset:132 ; 4-byte Folded Reload
	s_andn2_b64 s[72:73], s[72:73], exec
	s_waitcnt vmcnt(0)
	v_cmp_ge_u64_e32 vcc, v[0:1], v[4:5]
	s_orn2_b64 s[78:79], vcc, exec
	s_branch .LBB8_1240
.LBB8_1245:                             ;   in Loop: Header=BB8_662 Depth=1
	s_or_b64 exec, exec, s[60:61]
	s_and_saveexec_b64 s[60:61], s[62:63]
	s_xor_b64 s[60:61], exec, s[60:61]
	s_cbranch_execz .LBB8_1247
; %bb.1246:                             ;   in Loop: Header=BB8_662 Depth=1
	v_mov_b32_e32 v0, 1
	ds_write_b32 v0, v0
	s_trap 2
.LBB8_1247:                             ;   in Loop: Header=BB8_662 Depth=1
	s_or_b64 exec, exec, s[58:59]
	;;#ASMSTART
	s_wakeup
	;;#ASMEND
.LBB8_1248:                             ;   in Loop: Header=BB8_662 Depth=1
	s_or_b64 exec, exec, s[56:57]
.LBB8_1249:                             ;   in Loop: Header=BB8_662 Depth=1
	s_andn2_saveexec_b64 s[46:47], s[46:47]
	s_cbranch_execz .LBB8_1251
; %bb.1250:                             ;   in Loop: Header=BB8_662 Depth=1
	s_waitcnt vmcnt(0) lgkmcnt(0)
	buffer_wbinvl1_vol
	s_barrier
.LBB8_1251:                             ;   in Loop: Header=BB8_662 Depth=1
	s_or_b64 exec, exec, s[46:47]
.LBB8_1252:                             ;   in Loop: Header=BB8_662 Depth=1
	s_or_b64 exec, exec, s[18:19]
	s_trap 2
	ds_read_b32 v0, v0
	v_sub_u32_e32 v1, v60, v10
	v_min_i32_e32 v1, v50, v1
	v_cmp_lt_i32_e32 vcc, 0, v1
	s_waitcnt lgkmcnt(0)
	v_readfirstlane_b32 s18, v0
	s_cmp_eq_u32 s18, 0
	s_cselect_b64 s[18:19], -1, 0
	v_and_b32_e32 v0, 16, v27
	s_and_b64 s[18:19], vcc, s[18:19]
	v_cmp_ne_u32_e32 vcc, 0, v0
	s_and_b64 s[46:47], vcc, s[18:19]
	s_and_saveexec_b64 s[18:19], s[46:47]
	s_cbranch_execz .LBB8_1254
; %bb.1253:                             ;   in Loop: Header=BB8_662 Depth=1
	s_waitcnt vmcnt(0)
	buffer_wbinvl1_vol
.LBB8_1254:                             ;   in Loop: Header=BB8_662 Depth=1
	s_or_b64 exec, exec, s[18:19]
	v_and_b32_e32 v0, 32, v27
	v_cmp_ne_u32_e32 vcc, 0, v0
	s_and_saveexec_b64 s[18:19], vcc
	s_cbranch_execz .LBB8_660
; %bb.1255:                             ;   in Loop: Header=BB8_662 Depth=1
	buffer_load_dword v4, off, s[0:3], s33 offset:136 ; 4-byte Folded Reload
	buffer_load_dword v5, off, s[0:3], s33 offset:140 ; 4-byte Folded Reload
	;; [unrolled: 1-line block ×4, first 2 shown]
	s_waitcnt vmcnt(0)
	v_add_co_u32_e32 v6, vcc, 1, v6
	v_addc_co_u32_e32 v7, vcc, 0, v7, vcc
	buffer_store_dword v4, off, s[0:3], s33 offset:136 ; 4-byte Folded Spill
	s_nop 0
	buffer_store_dword v5, off, s[0:3], s33 offset:140 ; 4-byte Folded Spill
	buffer_store_dword v6, off, s[0:3], s33 offset:144 ; 4-byte Folded Spill
	;; [unrolled: 1-line block ×3, first 2 shown]
	flat_store_dwordx2 v[40:41], v[6:7]
	s_branch .LBB8_660
.LBB8_1256:
	s_or_b64 exec, exec, s[42:43]
	buffer_load_dword v21, off, s[0:3], s33 offset:276 ; 4-byte Folded Reload
	buffer_load_dword v31, off, s[0:3], s33 offset:280 ; 4-byte Folded Reload
	;; [unrolled: 1-line block ×9, first 2 shown]
.LBB8_1257:
	s_or_b64 exec, exec, s[28:29]
.LBB8_1258:
	s_or_b64 exec, exec, s[22:23]
                                        ; implicit-def: $vgpr0_vgpr1
                                        ; kill: killed $vgpr0_vgpr1
                                        ; implicit-def: $vgpr22_vgpr23
                                        ; implicit-def: $vgpr44_vgpr45
                                        ; implicit-def: $vgpr40_vgpr41
                                        ; implicit-def: $vgpr4
                                        ; implicit-def: $vgpr38
                                        ; implicit-def: $vgpr0_vgpr1
                                        ; kill: killed $vgpr0_vgpr1
                                        ; implicit-def: $vgpr0
                                        ; kill: killed $vgpr0
                                        ; implicit-def: $vgpr0_vgpr1
                                        ; kill: killed $vgpr0_vgpr1
                                        ; implicit-def: $vgpr0
.LBB8_1259:
	s_andn2_saveexec_b64 s[22:23], s[26:27]
	s_cbranch_execz .LBB8_1462
; %bb.1260:
	v_mov_b32_e32 v1, 0
	v_cmp_ne_u64_e32 vcc, 0, v[22:23]
	v_mov_b32_e32 v2, 0
	buffer_store_dword v1, off, s[0:3], s33 offset:128 ; 4-byte Folded Spill
	s_nop 0
	buffer_store_dword v2, off, s[0:3], s33 offset:132 ; 4-byte Folded Spill
	s_and_saveexec_b64 s[26:27], vcc
	s_cbranch_execz .LBB8_1461
; %bb.1261:
	s_waitcnt vmcnt(0)
	v_and_b32_e32 v1, 63, v31
	v_cmp_eq_u32_e64 s[12:13], 0, v1
	v_ashrrev_i32_e32 v1, 31, v0
	v_lshrrev_b32_e32 v1, 26, v1
	v_add_u32_e32 v1, v0, v1
	s_lshr_b32 s6, s30, 27
	v_and_b32_e32 v2, 0xffffffc0, v1
	s_add_i32 s30, s30, s6
	v_cmp_ge_i32_e64 s[6:7], v0, v21
	v_sub_u32_e32 v0, v0, v2
	buffer_store_dword v24, off, s[0:3], s33 offset:288 ; 4-byte Folded Spill
	s_nop 0
	buffer_store_dword v25, off, s[0:3], s33 offset:292 ; 4-byte Folded Spill
	s_trap 2
	v_cmp_gt_i32_e64 s[14:15], 1, v0
	v_cmp_lt_i32_e64 s[16:17], v0, v4
	v_ashrrev_i32_e32 v1, 6, v1
	buffer_store_dword v0, off, s[0:3], s33 offset:236 ; 4-byte Folded Spill
	v_lshlrev_b32_e32 v0, 4, v0
	v_lshl_add_u32 v0, v1, 12, v0
	buffer_store_dword v0, off, s[0:3], s33 offset:244 ; 4-byte Folded Spill
	v_ashrrev_i32_e32 v0, 31, v0
	v_lshrrev_b32_e32 v46, 6, v21
	buffer_store_dword v0, off, s[0:3], s33 offset:252 ; 4-byte Folded Spill
	v_mov_b32_e32 v0, 0xfffff000
	v_lshl_add_u32 v0, v46, 12, v0
	s_movk_i32 s95, 0x1000
	buffer_store_dword v1, off, s[0:3], s33 offset:188 ; 4-byte Folded Spill
	v_ashrrev_i32_e32 v1, 31, v0
	v_add_co_u32_e64 v2, s[18:19], s95, v0
	buffer_store_dword v8, off, s[0:3], s33 offset:284 ; 4-byte Folded Spill
	buffer_store_dword v31, off, s[0:3], s33 offset:280 ; 4-byte Folded Spill
	;; [unrolled: 1-line block ×5, first 2 shown]
	s_nop 0
	buffer_store_dword v1, off, s[0:3], s33 offset:176 ; 4-byte Folded Spill
	s_ashr_i32 s94, s30, 5
	s_movk_i32 s30, 0x400
	v_cmp_eq_u32_e32 vcc, 64, v21
	v_mov_b32_e32 v58, 0
	v_mov_b32_e32 v62, v27
	v_cmp_ne_u32_e64 s[10:11], 64, v21
	v_cmp_ne_u32_sdwa s[28:29], v21, v8 src0_sel:DWORD src1_sel:WORD_0
	v_mov_b32_e32 v14, 0
	s_mov_b64 s[40:41], 0
	v_mov_b32_e32 v59, 0
	s_xor_b64 s[42:43], vcc, -1
	v_addc_co_u32_e64 v0, s[18:19], 0, v1, s[18:19]
	buffer_store_dword v0, off, s[0:3], s33 offset:152 ; 4-byte Folded Spill
	v_lshlrev_b32_e32 v0, 10, v46
	v_add_u32_e32 v30, 0xfffffc00, v0
	v_ashrrev_i32_e32 v31, 31, v30
	v_add_co_u32_e64 v47, s[18:19], s30, v30
	v_addc_co_u32_e64 v2, s[18:19], 0, v31, s[18:19]
	v_lshlrev_b32_e32 v0, 7, v46
	v_add_u32_e32 v0, 0xffffff80, v0
	s_movk_i32 s18, 0x80
	v_ashrrev_i32_e32 v1, 31, v0
	v_add_co_u32_e64 v3, s[18:19], s18, v0
	buffer_store_dword v3, off, s[0:3], s33 offset:268 ; 4-byte Folded Spill
	buffer_store_dword v0, off, s[0:3], s33 offset:180 ; 4-byte Folded Spill
	s_nop 0
	buffer_store_dword v1, off, s[0:3], s33 offset:184 ; 4-byte Folded Spill
	v_addc_co_u32_e64 v0, s[18:19], 0, v1, s[18:19]
	buffer_store_dword v0, off, s[0:3], s33 offset:272 ; 4-byte Folded Spill
	buffer_load_dword v0, off, s[0:3], s33 offset:216 ; 4-byte Folded Reload
	s_nop 0
	buffer_load_dword v1, off, s[0:3], s33 offset:220 ; 4-byte Folded Reload
	s_waitcnt vmcnt(0)
	v_cmp_ne_u64_e64 s[18:19], 0, v[0:1]
	v_mov_b32_e32 v0, 0
	v_mov_b32_e32 v1, 0
	buffer_store_dword v0, off, s[0:3], s33 offset:128 ; 4-byte Folded Spill
	s_nop 0
	buffer_store_dword v1, off, s[0:3], s33 offset:132 ; 4-byte Folded Spill
	buffer_store_dword v22, off, s[0:3], s33 offset:156 ; 4-byte Folded Spill
	s_nop 0
	buffer_store_dword v23, off, s[0:3], s33 offset:160 ; 4-byte Folded Spill
	buffer_store_dword v24, off, s[0:3], s33 offset:164 ; 4-byte Folded Spill
	;; [unrolled: 1-line block ×4, first 2 shown]
	s_nop 0
	buffer_store_dword v39, off, s[0:3], s33 offset:196 ; 4-byte Folded Spill
	buffer_store_dword v30, off, s[0:3], s33 offset:260 ; 4-byte Folded Spill
	s_nop 0
	buffer_store_dword v31, off, s[0:3], s33 offset:264 ; 4-byte Folded Spill
	s_branch .LBB8_1265
.LBB8_1262:                             ;   in Loop: Header=BB8_1265 Depth=1
	s_or_b64 exec, exec, s[44:45]
	v_mov_b32_e32 v3, v54
	v_mov_b32_e32 v5, v56
	;; [unrolled: 1-line block ×3, first 2 shown]
	v_add_co_u32_e32 v5, vcc, 1, v5
	v_addc_co_u32_e32 v6, vcc, 0, v6, vcc
	v_mov_b32_e32 v4, v55
	v_mov_b32_e32 v57, v6
	;; [unrolled: 1-line block ×5, first 2 shown]
	flat_store_dwordx2 v[40:41], v[5:6]
.LBB8_1263:                             ;   in Loop: Header=BB8_1265 Depth=1
	s_or_b64 exec, exec, s[20:21]
.LBB8_1264:                             ;   in Loop: Header=BB8_1265 Depth=1
	s_or_b64 exec, exec, s[46:47]
	buffer_load_dword v38, off, s[0:3], s33 offset:192 ; 4-byte Folded Reload
	buffer_load_dword v39, off, s[0:3], s33 offset:196 ; 4-byte Folded Reload
	;; [unrolled: 1-line block ×6, first 2 shown]
	s_waitcnt vmcnt(0)
	v_add_co_u32_e32 v58, vcc, v58, v38
	v_addc_co_u32_e32 v59, vcc, 0, v59, vcc
	v_cmp_ge_u64_e32 vcc, v[58:59], v[22:23]
	s_or_b64 s[40:41], vcc, s[40:41]
	s_andn2_b64 exec, exec, s[40:41]
	s_cbranch_execz .LBB8_1460
.LBB8_1265:                             ; =>This Loop Header: Depth=1
                                        ;     Child Loop BB8_1274 Depth 2
                                        ;     Child Loop BB8_1298 Depth 2
	;; [unrolled: 1-line block ×10, first 2 shown]
	v_sub_co_u32_e32 v0, vcc, v22, v58
	v_subb_co_u32_e32 v1, vcc, v23, v59, vcc
	v_cmp_lt_u64_e32 vcc, v[38:39], v[0:1]
	v_cndmask_b32_e64 v53, v1, 0, vcc
	v_cndmask_b32_e32 v52, v0, v38, vcc
	v_cmp_eq_u64_e32 vcc, 0, v[52:53]
	v_add_u32_e32 v0, 15, v52
	v_and_b32_e32 v0, 0x3ffffff0, v0
	s_or_b64 s[44:45], s[6:7], vcc
	v_max_i32_e32 v53, s94, v0
	s_xor_b64 s[20:21], s[44:45], -1
	v_mov_b32_e32 v0, 0
	s_and_saveexec_b64 s[46:47], s[20:21]
	s_cbranch_execz .LBB8_1413
; %bb.1266:                             ;   in Loop: Header=BB8_1265 Depth=1
	s_and_saveexec_b64 s[20:21], s[4:5]
	s_cbranch_execz .LBB8_1268
; %bb.1267:                             ;   in Loop: Header=BB8_1265 Depth=1
	s_trap 2
	ds_read_b64 v[0:1], v0
	buffer_load_dword v3, off, s[0:3], s33 offset:224 ; 4-byte Folded Reload
	buffer_load_dword v4, off, s[0:3], s33 offset:228 ; 4-byte Folded Reload
	v_mov_b32_e32 v13, v14
	s_waitcnt vmcnt(0)
	v_lshlrev_b64 v[3:4], 1, v[3:4]
	s_waitcnt lgkmcnt(0)
	v_add_co_u32_e32 v3, vcc, v0, v3
	v_addc_co_u32_e32 v4, vcc, v1, v4, vcc
	v_lshlrev_b64 v[0:1], 1, v[58:59]
	v_add_co_u32_e32 v0, vcc, v3, v0
	v_addc_co_u32_e32 v1, vcc, v4, v1, vcc
	ds_write_b64 v0, v[0:1]
	ds_write_b64 v0, v[13:14]
.LBB8_1268:                             ;   in Loop: Header=BB8_1265 Depth=1
	s_or_b64 exec, exec, s[20:21]
	v_and_b32_e32 v0, 8, v62
	v_min_u32_e32 v53, v53, v52
	v_cmp_ne_u32_e32 vcc, 0, v0
	s_and_saveexec_b64 s[56:57], vcc
	s_cbranch_execz .LBB8_1290
; %bb.1269:                             ;   in Loop: Header=BB8_1265 Depth=1
	v_add_co_u32_e32 v3, vcc, 8, v44
	v_mov_b32_e32 v5, v54
	v_addc_co_u32_e32 v4, vcc, 0, v45, vcc
	v_mov_b32_e32 v7, v56
	v_mov_b32_e32 v8, v57
	v_add_co_u32_e32 v0, vcc, 1, v7
	v_addc_co_u32_e32 v1, vcc, 0, v8, vcc
	v_cmp_lt_u64_e32 vcc, v[3:4], v[0:1]
	v_mov_b32_e32 v6, v55
	s_and_saveexec_b64 s[58:59], vcc
	s_cbranch_execz .LBB8_1281
; %bb.1270:                             ;   in Loop: Header=BB8_1265 Depth=1
	v_and_b32_e32 v3, 64, v62
	s_mov_b32 s31, 0
	v_cmp_eq_u32_e32 vcc, 0, v3
	s_mov_b64 s[60:61], 0
                                        ; implicit-def: $sgpr62_sgpr63
                                        ; implicit-def: $sgpr72_sgpr73
                                        ; implicit-def: $sgpr74_sgpr75
	s_branch .LBB8_1274
.LBB8_1271:                             ;   in Loop: Header=BB8_1274 Depth=2
	s_waitcnt vmcnt(0) lgkmcnt(0)
	v_add_co_u32_e64 v4, s[20:21], 8, v44
	v_addc_co_u32_e64 v5, s[20:21], 0, v45, s[20:21]
	v_cmp_ge_u64_e64 s[20:21], v[4:5], v[0:1]
	s_or_b64 s[88:89], s[88:89], exec
	s_orn2_b64 s[78:79], s[20:21], exec
.LBB8_1272:                             ;   in Loop: Header=BB8_1274 Depth=2
	s_or_b64 exec, exec, s[92:93]
	s_andn2_b64 s[20:21], s[74:75], exec
	s_and_b64 s[74:75], s[88:89], exec
	s_or_b64 s[74:75], s[20:21], s[74:75]
	s_andn2_b64 s[20:21], s[72:73], exec
	s_and_b64 s[72:73], s[78:79], exec
	s_or_b64 s[72:73], s[20:21], s[72:73]
.LBB8_1273:                             ;   in Loop: Header=BB8_1274 Depth=2
	s_or_b64 exec, exec, s[76:77]
	s_and_b64 s[20:21], exec, s[72:73]
	s_or_b64 s[60:61], s[20:21], s[60:61]
	s_andn2_b64 s[20:21], s[62:63], exec
	s_and_b64 s[62:63], s[74:75], exec
	s_or_b64 s[62:63], s[20:21], s[62:63]
	s_andn2_b64 exec, exec, s[60:61]
	s_cbranch_execz .LBB8_1278
.LBB8_1274:                             ;   Parent Loop BB8_1265 Depth=1
                                        ; =>  This Inner Loop Header: Depth=2
	s_sleep 1
	s_waitcnt vmcnt(0) lgkmcnt(0)
	flat_load_dwordx2 v[44:45], v[40:41] glc
	s_or_b64 s[74:75], s[74:75], exec
	s_or_b64 s[72:73], s[72:73], exec
                                        ; implicit-def: $vgpr3
	s_and_saveexec_b64 s[76:77], vcc
	s_cbranch_execz .LBB8_1273
; %bb.1275:                             ;   in Loop: Header=BB8_1274 Depth=2
	s_cmpk_lt_i32 s31, 0x270f
	s_cselect_b64 s[90:91], -1, 0
	s_cmpk_gt_i32 s31, 0x270e
	s_mov_b64 s[78:79], -1
	s_cbranch_scc0 .LBB8_1277
; %bb.1276:                             ;   in Loop: Header=BB8_1274 Depth=2
	s_trap 2
	ds_read_b64 v[3:4], v0
	s_andn2_b64 s[90:91], s[90:91], exec
	s_mov_b32 s31, 0
	s_mov_b64 s[88:89], 0
	s_waitcnt vmcnt(0) lgkmcnt(0)
	flat_load_dword v3, v[3:4] glc
	s_waitcnt vmcnt(0) lgkmcnt(0)
	buffer_wbinvl1_vol
	v_cmp_eq_u32_e64 s[20:21], 0, v3
	s_and_b64 s[20:21], s[20:21], exec
	s_or_b64 s[90:91], s[90:91], s[20:21]
	s_and_saveexec_b64 s[92:93], s[90:91]
	s_cbranch_execz .LBB8_1272
	s_branch .LBB8_1271
.LBB8_1277:                             ;   in Loop: Header=BB8_1274 Depth=2
	s_add_i32 s31, s31, 1
	s_mov_b64 s[88:89], -1
                                        ; implicit-def: $vgpr3
	s_and_saveexec_b64 s[92:93], s[90:91]
	s_cbranch_execz .LBB8_1272
	s_branch .LBB8_1271
.LBB8_1278:                             ;   in Loop: Header=BB8_1265 Depth=1
	s_or_b64 exec, exec, s[60:61]
	s_xor_b64 s[20:21], s[62:63], -1
	s_and_saveexec_b64 s[60:61], s[20:21]
	s_xor_b64 s[20:21], exec, s[60:61]
	s_cbranch_execz .LBB8_1280
; %bb.1279:                             ;   in Loop: Header=BB8_1265 Depth=1
	v_or_b32_e32 v62, 64, v62
	s_waitcnt lgkmcnt(0)
	ds_write_b32 v0, v3
	s_trap 2
.LBB8_1280:                             ;   in Loop: Header=BB8_1265 Depth=1
	s_or_b64 exec, exec, s[20:21]
.LBB8_1281:                             ;   in Loop: Header=BB8_1265 Depth=1
	s_or_b64 exec, exec, s[58:59]
	v_and_b32_e32 v3, 0x100, v62
	v_cmp_ne_u32_e32 vcc, 0, v3
	v_and_b32_e32 v3, 7, v56
	s_mov_b64 s[20:21], -1
	;;#ASMSTART
	s_wakeup
	;;#ASMEND
                                        ; implicit-def: $vgpr4_vgpr5
	s_and_saveexec_b64 s[58:59], vcc
	s_cbranch_execz .LBB8_1285
; %bb.1282:                             ;   in Loop: Header=BB8_1265 Depth=1
	v_mad_u64_u32 v[8:9], s[20:21], v3, 24, v[54:55]
	v_lshlrev_b32_e32 v13, 1, v53
	flat_load_dword v4, v[8:9]
	s_nop 0
	flat_store_dwordx2 v[8:9], v[13:14] offset:8
	s_waitcnt vmcnt(0) lgkmcnt(0)
	v_cmp_ne_u32_e32 vcc, 1, v4
	v_cmp_eq_u32_e64 s[20:21], 1, v4
                                        ; implicit-def: $vgpr4_vgpr5
	s_and_saveexec_b64 s[60:61], s[20:21]
	s_cbranch_execz .LBB8_1284
; %bb.1283:                             ;   in Loop: Header=BB8_1265 Depth=1
	flat_load_dword v4, v[8:9] offset:4 glc
	s_waitcnt vmcnt(0) lgkmcnt(0)
	v_ashrrev_i32_e32 v5, 31, v4
	v_lshrrev_b64 v[4:5], 1, v[4:5]
.LBB8_1284:                             ;   in Loop: Header=BB8_1265 Depth=1
	s_or_b64 exec, exec, s[60:61]
	s_orn2_b64 s[20:21], vcc, exec
.LBB8_1285:                             ;   in Loop: Header=BB8_1265 Depth=1
	s_or_b64 exec, exec, s[58:59]
	s_and_saveexec_b64 s[58:59], s[20:21]
	s_cbranch_execz .LBB8_1287
; %bb.1286:                             ;   in Loop: Header=BB8_1265 Depth=1
	buffer_load_dword v4, off, s[0:3], s33 offset:232 ; 4-byte Folded Reload
	s_waitcnt vmcnt(0)
	v_mad_i64_i32 v[4:5], s[20:21], v3, v4, 0
.LBB8_1287:                             ;   in Loop: Header=BB8_1265 Depth=1
	s_or_b64 exec, exec, s[58:59]
	v_lshlrev_b64 v[3:4], 1, v[4:5]
	buffer_load_dword v5, off, s[0:3], s33 offset:200 ; 4-byte Folded Reload
	buffer_load_dword v6, off, s[0:3], s33 offset:204 ; 4-byte Folded Reload
	s_waitcnt vmcnt(0)
	v_add_co_u32_e32 v3, vcc, v5, v3
	v_addc_co_u32_e32 v4, vcc, v6, v4, vcc
	ds_write_b64 v0, v[3:4] offset:784
	v_and_b32_e32 v3, 0x2000, v62
	v_cmp_ne_u32_e32 vcc, 0, v3
	s_and_saveexec_b64 s[20:21], vcc
	s_cbranch_execz .LBB8_1289
; %bb.1288:                             ;   in Loop: Header=BB8_1265 Depth=1
	ds_read_b64 v[3:4], v0 offset:872
	s_waitcnt lgkmcnt(0)
	v_add_co_u32_e32 v3, vcc, 1, v3
	v_addc_co_u32_e32 v4, vcc, 0, v4, vcc
	ds_write_b64 v0, v[3:4] offset:872
.LBB8_1289:                             ;   in Loop: Header=BB8_1265 Depth=1
	s_or_b64 exec, exec, s[20:21]
	v_mov_b32_e32 v57, v1
	v_mov_b32_e32 v56, v0
.LBB8_1290:                             ;   in Loop: Header=BB8_1265 Depth=1
	s_or_b64 exec, exec, s[56:57]
	s_and_saveexec_b64 s[20:21], s[10:11]
	s_cbranch_execz .LBB8_1309
; %bb.1291:                             ;   in Loop: Header=BB8_1265 Depth=1
	s_and_saveexec_b64 s[56:57], s[28:29]
	s_xor_b64 s[56:57], exec, s[56:57]
	s_cbranch_execz .LBB8_1306
; %bb.1292:                             ;   in Loop: Header=BB8_1265 Depth=1
	s_and_saveexec_b64 s[58:59], s[12:13]
	s_cbranch_execz .LBB8_1305
; %bb.1293:                             ;   in Loop: Header=BB8_1265 Depth=1
	s_mov_b64 s[62:63], exec
	v_mbcnt_lo_u32_b32 v0, s62, 0
	v_mbcnt_hi_u32_b32 v0, s63, v0
	v_cmp_eq_u32_e32 vcc, 0, v0
	s_waitcnt vmcnt(0) lgkmcnt(0)
	buffer_wbinvl1_vol
	s_and_saveexec_b64 s[60:61], vcc
	s_cbranch_execz .LBB8_1295
; %bb.1294:                             ;   in Loop: Header=BB8_1265 Depth=1
	s_bcnt1_i32_b64 s62, s[62:63]
	v_mov_b32_e32 v13, s62
	ds_add_u64 v0, v[13:14]
	s_trap 2
.LBB8_1295:                             ;   in Loop: Header=BB8_1265 Depth=1
	s_or_b64 exec, exec, s[60:61]
	s_trap 2
	ds_read_b64 v[0:1], v0
	s_waitcnt lgkmcnt(0)
	buffer_load_dword v3, off, s[0:3], s33 offset:128 ; 4-byte Folded Reload
	buffer_load_dword v4, off, s[0:3], s33 offset:132 ; 4-byte Folded Reload
	s_waitcnt vmcnt(1)
	v_add_co_u32_e32 v3, vcc, v3, v46
	s_waitcnt vmcnt(0)
	v_addc_co_u32_e32 v4, vcc, 0, v4, vcc
	buffer_store_dword v3, off, s[0:3], s33 offset:128 ; 4-byte Folded Spill
	s_nop 0
	buffer_store_dword v4, off, s[0:3], s33 offset:132 ; 4-byte Folded Spill
	v_cmp_lt_u64_e32 vcc, v[0:1], v[3:4]
	s_and_saveexec_b64 s[60:61], vcc
	s_cbranch_execz .LBB8_1304
; %bb.1296:                             ;   in Loop: Header=BB8_1265 Depth=1
	s_mov_b32 s90, 0
	s_mov_b64 s[62:63], 0
                                        ; implicit-def: $sgpr72_sgpr73
                                        ; implicit-def: $sgpr74_sgpr75
	s_branch .LBB8_1298
.LBB8_1297:                             ;   in Loop: Header=BB8_1298 Depth=2
	s_or_b64 exec, exec, s[78:79]
	s_and_b64 s[76:77], exec, s[88:89]
	s_or_b64 s[62:63], s[76:77], s[62:63]
	s_andn2_b64 s[72:73], s[72:73], exec
	s_and_b64 s[76:77], s[74:75], exec
	s_or_b64 s[72:73], s[72:73], s[76:77]
	s_andn2_b64 exec, exec, s[62:63]
	s_cbranch_execz .LBB8_1302
.LBB8_1298:                             ;   Parent Loop BB8_1265 Depth=1
                                        ; =>  This Inner Loop Header: Depth=2
	s_add_i32 s90, s90, 1
	s_cmpk_lg_i32 s90, 0x2710
	s_cselect_b64 s[76:77], -1, 0
	s_and_b64 vcc, exec, s[76:77]
	s_cbranch_vccz .LBB8_1300
; %bb.1299:                             ;   in Loop: Header=BB8_1298 Depth=2
	s_mov_b64 s[88:89], -1
	s_or_b64 s[74:75], s[74:75], exec
	s_and_saveexec_b64 s[78:79], s[76:77]
	s_cbranch_execz .LBB8_1297
	s_branch .LBB8_1301
.LBB8_1300:                             ;   in Loop: Header=BB8_1298 Depth=2
	s_trap 2
	ds_read_b64 v[0:1], v0
	s_andn2_b64 s[76:77], s[76:77], exec
	s_mov_b32 s90, 0
	s_waitcnt vmcnt(0) lgkmcnt(0)
	flat_load_dword v0, v[0:1] glc
	s_waitcnt vmcnt(0) lgkmcnt(0)
	buffer_wbinvl1_vol
	v_cmp_eq_u32_e32 vcc, 0, v0
	s_and_b64 s[78:79], vcc, exec
	s_or_b64 s[76:77], s[76:77], s[78:79]
	s_mov_b64 s[88:89], -1
	s_or_b64 s[74:75], s[74:75], exec
	s_and_saveexec_b64 s[78:79], s[76:77]
	s_cbranch_execz .LBB8_1297
.LBB8_1301:                             ;   in Loop: Header=BB8_1298 Depth=2
	s_sleep 1
	s_trap 2
	ds_read_b64 v[0:1], v0
	s_waitcnt lgkmcnt(0)
	buffer_load_dword v3, off, s[0:3], s33 offset:128 ; 4-byte Folded Reload
	buffer_load_dword v4, off, s[0:3], s33 offset:132 ; 4-byte Folded Reload
	s_andn2_b64 s[74:75], s[74:75], exec
	s_waitcnt vmcnt(0)
	v_cmp_ge_u64_e32 vcc, v[0:1], v[3:4]
	s_orn2_b64 s[88:89], vcc, exec
	s_branch .LBB8_1297
.LBB8_1302:                             ;   in Loop: Header=BB8_1265 Depth=1
	s_or_b64 exec, exec, s[62:63]
	s_and_saveexec_b64 s[62:63], s[72:73]
	s_xor_b64 s[62:63], exec, s[62:63]
	s_cbranch_execz .LBB8_1304
; %bb.1303:                             ;   in Loop: Header=BB8_1265 Depth=1
	v_mov_b32_e32 v0, 1
	ds_write_b32 v0, v0
	s_trap 2
.LBB8_1304:                             ;   in Loop: Header=BB8_1265 Depth=1
	s_or_b64 exec, exec, s[60:61]
	;;#ASMSTART
	s_wakeup
	;;#ASMEND
.LBB8_1305:                             ;   in Loop: Header=BB8_1265 Depth=1
	s_or_b64 exec, exec, s[58:59]
.LBB8_1306:                             ;   in Loop: Header=BB8_1265 Depth=1
	s_andn2_saveexec_b64 s[56:57], s[56:57]
	s_cbranch_execz .LBB8_1308
; %bb.1307:                             ;   in Loop: Header=BB8_1265 Depth=1
	s_waitcnt vmcnt(0) lgkmcnt(0)
	buffer_wbinvl1_vol
	s_barrier
.LBB8_1308:                             ;   in Loop: Header=BB8_1265 Depth=1
	s_or_b64 exec, exec, s[56:57]
.LBB8_1309:                             ;   in Loop: Header=BB8_1265 Depth=1
	s_or_b64 exec, exec, s[20:21]
	s_trap 2
	ds_read_b32 v0, v0
	v_and_b32_e32 v1, 0x4000, v62
	v_cmp_ne_u32_e32 vcc, 0, v1
	s_and_b64 s[56:57], s[42:43], vcc
	s_and_saveexec_b64 s[20:21], s[56:57]
	s_cbranch_execz .LBB8_1328
; %bb.1310:                             ;   in Loop: Header=BB8_1265 Depth=1
	s_and_saveexec_b64 s[56:57], s[28:29]
	s_xor_b64 s[56:57], exec, s[56:57]
	s_cbranch_execz .LBB8_1325
; %bb.1311:                             ;   in Loop: Header=BB8_1265 Depth=1
	s_and_saveexec_b64 s[58:59], s[12:13]
	s_cbranch_execz .LBB8_1324
; %bb.1312:                             ;   in Loop: Header=BB8_1265 Depth=1
	s_mov_b64 s[62:63], exec
	v_mbcnt_lo_u32_b32 v1, s62, 0
	v_mbcnt_hi_u32_b32 v1, s63, v1
	v_cmp_eq_u32_e32 vcc, 0, v1
	s_waitcnt vmcnt(0) lgkmcnt(0)
	buffer_wbinvl1_vol
	s_and_saveexec_b64 s[60:61], vcc
	s_cbranch_execz .LBB8_1314
; %bb.1313:                             ;   in Loop: Header=BB8_1265 Depth=1
	s_bcnt1_i32_b64 s62, s[62:63]
	v_mov_b32_e32 v13, s62
	ds_add_u64 v0, v[13:14]
	s_trap 2
.LBB8_1314:                             ;   in Loop: Header=BB8_1265 Depth=1
	s_or_b64 exec, exec, s[60:61]
	s_trap 2
	ds_read_b64 v[3:4], v0
	s_waitcnt lgkmcnt(0)
	buffer_load_dword v5, off, s[0:3], s33 offset:128 ; 4-byte Folded Reload
	buffer_load_dword v6, off, s[0:3], s33 offset:132 ; 4-byte Folded Reload
	s_waitcnt vmcnt(1)
	v_add_co_u32_e32 v5, vcc, v5, v46
	s_waitcnt vmcnt(0)
	v_addc_co_u32_e32 v6, vcc, 0, v6, vcc
	buffer_store_dword v5, off, s[0:3], s33 offset:128 ; 4-byte Folded Spill
	s_nop 0
	buffer_store_dword v6, off, s[0:3], s33 offset:132 ; 4-byte Folded Spill
	v_cmp_lt_u64_e32 vcc, v[3:4], v[5:6]
	s_and_saveexec_b64 s[60:61], vcc
	s_cbranch_execz .LBB8_1323
; %bb.1315:                             ;   in Loop: Header=BB8_1265 Depth=1
	s_mov_b32 s90, 0
	s_mov_b64 s[62:63], 0
                                        ; implicit-def: $sgpr72_sgpr73
                                        ; implicit-def: $sgpr74_sgpr75
	s_branch .LBB8_1317
.LBB8_1316:                             ;   in Loop: Header=BB8_1317 Depth=2
	s_or_b64 exec, exec, s[78:79]
	s_and_b64 s[76:77], exec, s[88:89]
	s_or_b64 s[62:63], s[76:77], s[62:63]
	s_andn2_b64 s[72:73], s[72:73], exec
	s_and_b64 s[76:77], s[74:75], exec
	s_or_b64 s[72:73], s[72:73], s[76:77]
	s_andn2_b64 exec, exec, s[62:63]
	s_cbranch_execz .LBB8_1321
.LBB8_1317:                             ;   Parent Loop BB8_1265 Depth=1
                                        ; =>  This Inner Loop Header: Depth=2
	s_add_i32 s90, s90, 1
	s_cmpk_lg_i32 s90, 0x2710
	s_cselect_b64 s[76:77], -1, 0
	s_and_b64 vcc, exec, s[76:77]
	s_cbranch_vccz .LBB8_1319
; %bb.1318:                             ;   in Loop: Header=BB8_1317 Depth=2
	s_mov_b64 s[88:89], -1
	s_or_b64 s[74:75], s[74:75], exec
	s_and_saveexec_b64 s[78:79], s[76:77]
	s_cbranch_execz .LBB8_1316
	s_branch .LBB8_1320
.LBB8_1319:                             ;   in Loop: Header=BB8_1317 Depth=2
	s_trap 2
	ds_read_b64 v[3:4], v0
	s_andn2_b64 s[76:77], s[76:77], exec
	s_mov_b32 s90, 0
	s_waitcnt vmcnt(0) lgkmcnt(0)
	flat_load_dword v1, v[3:4] glc
	s_waitcnt vmcnt(0) lgkmcnt(0)
	buffer_wbinvl1_vol
	v_cmp_eq_u32_e32 vcc, 0, v1
	s_and_b64 s[78:79], vcc, exec
	s_or_b64 s[76:77], s[76:77], s[78:79]
	s_mov_b64 s[88:89], -1
	s_or_b64 s[74:75], s[74:75], exec
	s_and_saveexec_b64 s[78:79], s[76:77]
	s_cbranch_execz .LBB8_1316
.LBB8_1320:                             ;   in Loop: Header=BB8_1317 Depth=2
	s_sleep 1
	s_trap 2
	ds_read_b64 v[3:4], v0
	s_waitcnt lgkmcnt(0)
	buffer_load_dword v5, off, s[0:3], s33 offset:128 ; 4-byte Folded Reload
	buffer_load_dword v6, off, s[0:3], s33 offset:132 ; 4-byte Folded Reload
	s_andn2_b64 s[74:75], s[74:75], exec
	s_waitcnt vmcnt(0)
	v_cmp_ge_u64_e32 vcc, v[3:4], v[5:6]
	s_orn2_b64 s[88:89], vcc, exec
	s_branch .LBB8_1316
.LBB8_1321:                             ;   in Loop: Header=BB8_1265 Depth=1
	s_or_b64 exec, exec, s[62:63]
	s_and_saveexec_b64 s[62:63], s[72:73]
	s_xor_b64 s[62:63], exec, s[62:63]
	s_cbranch_execz .LBB8_1323
; %bb.1322:                             ;   in Loop: Header=BB8_1265 Depth=1
	v_mov_b32_e32 v1, 1
	ds_write_b32 v0, v1
	s_trap 2
.LBB8_1323:                             ;   in Loop: Header=BB8_1265 Depth=1
	s_or_b64 exec, exec, s[60:61]
	;;#ASMSTART
	s_wakeup
	;;#ASMEND
.LBB8_1324:                             ;   in Loop: Header=BB8_1265 Depth=1
	s_or_b64 exec, exec, s[58:59]
.LBB8_1325:                             ;   in Loop: Header=BB8_1265 Depth=1
	s_andn2_saveexec_b64 s[56:57], s[56:57]
	s_cbranch_execz .LBB8_1327
; %bb.1326:                             ;   in Loop: Header=BB8_1265 Depth=1
	s_waitcnt vmcnt(0) lgkmcnt(0)
	buffer_wbinvl1_vol
	s_barrier
.LBB8_1327:                             ;   in Loop: Header=BB8_1265 Depth=1
	s_or_b64 exec, exec, s[56:57]
.LBB8_1328:                             ;   in Loop: Header=BB8_1265 Depth=1
	s_or_b64 exec, exec, s[20:21]
	s_trap 2
	s_waitcnt lgkmcnt(0)
	ds_read_b64 v[42:43], v0
	s_waitcnt lgkmcnt(0)
	v_cmp_eq_u64_e32 vcc, 0, v[42:43]
	s_cbranch_vccnz .LBB8_1336
; %bb.1329:                             ;   in Loop: Header=BB8_1265 Depth=1
	s_trap 2
	ds_read_b64 v[60:61], v0
	s_waitcnt lgkmcnt(0)
	v_cmp_eq_u64_e32 vcc, 0, v[60:61]
	s_cbranch_vccnz .LBB8_1336
; %bb.1330:                             ;   in Loop: Header=BB8_1265 Depth=1
	s_mov_b64 s[56:57], -1
	s_and_saveexec_b64 s[20:21], s[14:15]
	s_cbranch_execz .LBB8_1332
; %bb.1331:                             ;   in Loop: Header=BB8_1265 Depth=1
	ds_read_b32 v1, v0 offset:720
	s_waitcnt lgkmcnt(0)
	v_and_b32_e32 v1, 15, v1
	v_cmp_eq_u32_e32 vcc, 0, v1
	s_orn2_b64 s[56:57], vcc, exec
.LBB8_1332:                             ;   in Loop: Header=BB8_1265 Depth=1
	s_or_b64 exec, exec, s[20:21]
	s_and_saveexec_b64 s[20:21], s[16:17]
	s_cbranch_execz .LBB8_1334
; %bb.1333:                             ;   in Loop: Header=BB8_1265 Depth=1
	ds_read_b32 v1, v0 offset:784
	s_waitcnt lgkmcnt(0)
	v_and_b32_e32 v1, 15, v1
	v_cmp_eq_u32_e32 vcc, 0, v1
	s_and_b64 s[58:59], s[56:57], vcc
	s_andn2_b64 s[56:57], s[56:57], exec
	s_and_b64 s[58:59], s[58:59], exec
	s_or_b64 s[56:57], s[56:57], s[58:59]
.LBB8_1334:                             ;   in Loop: Header=BB8_1265 Depth=1
	s_or_b64 exec, exec, s[20:21]
	s_xor_b64 s[56:57], s[56:57], -1
	v_cmp_eq_u32_e64 s[20:21], 0, v0
	v_cndmask_b32_e64 v0, 0, 1, s[56:57]
	s_mov_b64 s[58:59], -1
	v_cmp_ne_u32_e32 vcc, 0, v0
	s_cbranch_vccz .LBB8_1337
; %bb.1335:                             ;   in Loop: Header=BB8_1265 Depth=1
	s_mov_b64 s[58:59], 0
	s_mov_b64 s[56:57], -1
	s_branch .LBB8_1338
.LBB8_1336:                             ;   in Loop: Header=BB8_1265 Depth=1
	s_mov_b64 s[20:21], 0
	s_and_saveexec_b64 s[56:57], s[10:11]
	s_cbranch_execnz .LBB8_1388
	s_branch .LBB8_1406
.LBB8_1337:                             ;   in Loop: Header=BB8_1265 Depth=1
	s_mov_b64 s[56:57], 0
.LBB8_1338:                             ;   in Loop: Header=BB8_1265 Depth=1
	v_cndmask_b32_e64 v18, 0, v53, s[20:21]
	v_lshlrev_b32_e32 v3, 1, v18
	s_andn2_b64 vcc, exec, s[58:59]
	v_mov_b32_e32 v12, 0
	s_cbranch_vccnz .LBB8_1346
; %bb.1339:                             ;   in Loop: Header=BB8_1265 Depth=1
	buffer_store_dword v13, off, s[0:3], s33 offset:208 ; 4-byte Folded Spill
	s_nop 0
	buffer_store_dword v14, off, s[0:3], s33 offset:212 ; 4-byte Folded Spill
	buffer_load_dword v0, off, s[0:3], s33 offset:188 ; 4-byte Folded Reload
	buffer_load_dword v1, off, s[0:3], s33 offset:252 ; 4-byte Folded Reload
	v_lshrrev_b32_e32 v8, 11, v18
	v_mov_b32_e32 v9, v18
	s_mov_b64 s[58:59], 0
                                        ; implicit-def: $vgpr10_vgpr11
                                        ; implicit-def: $vgpr14_vgpr15
                                        ; implicit-def: $vgpr18_vgpr19
                                        ; implicit-def: $vgpr22_vgpr23
	s_waitcnt vmcnt(1)
	v_sub_u32_e32 v30, v8, v0
	buffer_load_dword v0, off, s[0:3], s33 offset:244 ; 4-byte Folded Reload
	s_waitcnt vmcnt(0)
	v_add_co_u32_e32 v0, vcc, v60, v0
	v_addc_co_u32_e32 v1, vcc, v61, v1, vcc
	v_cmp_lt_i32_e32 vcc, 0, v30
	s_and_saveexec_b64 s[20:21], vcc
	s_cbranch_execz .LBB8_1348
; %bb.1340:                             ;   in Loop: Header=BB8_1265 Depth=1
	buffer_load_dword v4, off, s[0:3], s33 offset:244 ; 4-byte Folded Reload
	buffer_load_dword v5, off, s[0:3], s33 offset:252 ; 4-byte Folded Reload
	s_mov_b64 s[62:63], 0
                                        ; implicit-def: $sgpr60_sgpr61
                                        ; implicit-def: $vgpr10_vgpr11
                                        ; implicit-def: $vgpr14_vgpr15
                                        ; implicit-def: $vgpr18_vgpr19
                                        ; implicit-def: $vgpr22_vgpr23
	s_waitcnt vmcnt(1)
	v_add_co_u32_e32 v4, vcc, v42, v4
	s_waitcnt vmcnt(0)
	v_addc_co_u32_e32 v5, vcc, v43, v5, vcc
	s_branch .LBB8_1342
.LBB8_1341:                             ;   in Loop: Header=BB8_1342 Depth=2
	s_or_b64 exec, exec, s[72:73]
	global_store_dwordx4 v[0:1], v[26:29], off glc slc
	global_store_dwordx4 v[0:1], v[32:35], off offset:1024 glc slc
	global_store_dwordx4 v[0:1], v[36:39], off offset:2048 glc slc
	;; [unrolled: 1-line block ×3, first 2 shown]
	s_waitcnt vmcnt(5)
	v_add_co_u32_e32 v0, vcc, v0, v30
	s_waitcnt vmcnt(4)
	v_addc_co_u32_e32 v1, vcc, v1, v31, vcc
	v_add_co_u32_e32 v0, vcc, s95, v0
	v_addc_co_u32_e32 v1, vcc, 0, v1, vcc
	v_add_co_u32_e32 v4, vcc, v4, v30
	v_addc_co_u32_e32 v5, vcc, v5, v31, vcc
	v_sub_u32_e32 v30, v6, v7
	v_cmp_gt_i32_e32 vcc, 1, v30
	s_or_b64 s[58:59], vcc, s[58:59]
	s_andn2_b64 s[60:61], s[60:61], exec
	s_and_b64 s[72:73], s[62:63], exec
	s_or_b64 s[60:61], s[60:61], s[72:73]
	s_andn2_b64 exec, exec, s[58:59]
	s_cbranch_execz .LBB8_1347
.LBB8_1342:                             ;   Parent Loop BB8_1265 Depth=1
                                        ; =>  This Inner Loop Header: Depth=2
	global_load_dwordx4 v[26:29], v[4:5], off glc slc
	global_load_dwordx4 v[32:35], v[4:5], off offset:1024 glc slc
	global_load_dwordx4 v[36:39], v[4:5], off offset:2048 glc slc
	;; [unrolled: 1-line block ×3, first 2 shown]
	s_and_saveexec_b64 s[72:73], s[62:63]
	s_cbranch_execz .LBB8_1344
; %bb.1343:                             ;   in Loop: Header=BB8_1342 Depth=2
	global_store_dwordx4 v[0:1], v[10:13], off glc slc
	global_store_dwordx4 v[0:1], v[14:17], off offset:1024 glc slc
	global_store_dwordx4 v[0:1], v[18:21], off offset:2048 glc slc
	;; [unrolled: 1-line block ×3, first 2 shown]
	buffer_load_dword v6, off, s[0:3], s33 offset:136 ; 4-byte Folded Reload
	s_waitcnt vmcnt(0)
	v_add_co_u32_e32 v0, vcc, v0, v6
	buffer_load_dword v6, off, s[0:3], s33 offset:152 ; 4-byte Folded Reload
	s_waitcnt vmcnt(0)
	v_addc_co_u32_e32 v1, vcc, v1, v6, vcc
.LBB8_1344:                             ;   in Loop: Header=BB8_1342 Depth=2
	s_or_b64 exec, exec, s[72:73]
	buffer_load_dword v6, off, s[0:3], s33 offset:136 ; 4-byte Folded Reload
	v_mov_b32_e32 v7, 0
	s_waitcnt vmcnt(0)
	v_add_co_u32_e32 v4, vcc, v4, v6
	buffer_load_dword v6, off, s[0:3], s33 offset:152 ; 4-byte Folded Reload
	s_waitcnt vmcnt(0)
	v_addc_co_u32_e32 v5, vcc, v5, v6, vcc
	v_sub_u32_e32 v6, v30, v46
	v_mov_b32_e32 v30, 0
	v_mov_b32_e32 v31, 0
	v_cmp_lt_i32_e64 s[62:63], 0, v6
	s_and_saveexec_b64 s[72:73], s[62:63]
	s_cbranch_execz .LBB8_1341
; %bb.1345:                             ;   in Loop: Header=BB8_1342 Depth=2
	global_load_dwordx4 v[10:13], v[4:5], off glc slc
	global_load_dwordx4 v[14:17], v[4:5], off offset:1024 glc slc
	global_load_dwordx4 v[18:21], v[4:5], off offset:2048 glc slc
	;; [unrolled: 1-line block ×3, first 2 shown]
	buffer_load_dword v30, off, s[0:3], s33 offset:172 ; 4-byte Folded Reload
	buffer_load_dword v31, off, s[0:3], s33 offset:176 ; 4-byte Folded Reload
	v_add_co_u32_e32 v4, vcc, 0x1000, v4
	v_addc_co_u32_e32 v5, vcc, 0, v5, vcc
	v_mov_b32_e32 v7, v46
	s_branch .LBB8_1341
.LBB8_1346:                             ;   in Loop: Header=BB8_1265 Depth=1
	buffer_load_dword v13, off, s[0:3], s33 offset:236 ; 4-byte Folded Reload
	buffer_load_dword v0, off, s[0:3], s33 offset:188 ; 4-byte Folded Reload
	s_and_saveexec_b64 s[20:21], s[56:57]
	s_cbranch_execnz .LBB8_1367
	s_branch .LBB8_1387
.LBB8_1347:                             ;   in Loop: Header=BB8_1265 Depth=1
	s_or_b64 exec, exec, s[58:59]
	s_and_b64 s[58:59], s[60:61], exec
.LBB8_1348:                             ;   in Loop: Header=BB8_1265 Depth=1
	s_or_b64 exec, exec, s[20:21]
	s_and_saveexec_b64 s[20:21], s[58:59]
	s_cbranch_execz .LBB8_1350
; %bb.1349:                             ;   in Loop: Header=BB8_1265 Depth=1
	global_store_dwordx4 v[0:1], v[10:13], off glc slc
	global_store_dwordx4 v[0:1], v[14:17], off offset:1024 glc slc
	global_store_dwordx4 v[0:1], v[18:21], off offset:2048 glc slc
	;; [unrolled: 1-line block ×3, first 2 shown]
.LBB8_1350:                             ;   in Loop: Header=BB8_1265 Depth=1
	s_or_b64 exec, exec, s[20:21]
	v_lshlrev_b32_e32 v4, 12, v8
	v_cmp_ne_u32_e32 vcc, v3, v4
                                        ; implicit-def: $vgpr12
                                        ; implicit-def: $vgpr13
                                        ; implicit-def: $vgpr0
	s_mov_b64 s[58:59], exec
	buffer_load_dword v5, off, s[0:3], s33 offset:208 ; 4-byte Folded Reload
	buffer_load_dword v6, off, s[0:3], s33 offset:212 ; 4-byte Folded Reload
	s_and_b64 s[20:21], s[58:59], vcc
	v_mov_b32_e32 v18, v9
	s_waitcnt vmcnt(0)
	v_mov_b32_e32 v14, v6
	s_mov_b64 exec, s[20:21]
	s_cbranch_execz .LBB8_1366
; %bb.1351:                             ;   in Loop: Header=BB8_1265 Depth=1
	buffer_load_dword v5, off, s[0:3], s33 offset:236 ; 4-byte Folded Reload
	v_lshlrev_b32_e32 v1, 6, v30
	v_sub_u32_e32 v0, v3, v4
	s_mov_b64 s[62:63], 0
                                        ; implicit-def: $vgpr10_vgpr11
	s_waitcnt vmcnt(0)
	v_sub_u32_e32 v1, v5, v1
	v_ashrrev_i32_e32 v5, 31, v1
	v_lshrrev_b32_e32 v5, 26, v5
	v_add_u32_e32 v5, v1, v5
	v_ashrrev_i32_e32 v7, 6, v5
	v_and_b32_e32 v5, 0xffffffc0, v5
	v_sub_u32_e32 v5, v1, v5
	v_lshlrev_b32_e32 v1, 4, v5
	v_lshl_add_u32 v1, v7, 10, v1
	v_add_u32_e32 v6, v1, v4
	v_sub_u32_e32 v23, v0, v1
	v_ashrrev_i32_e32 v1, 31, v0
	v_lshrrev_b32_e32 v1, 22, v1
	v_add_u32_e32 v1, v0, v1
	v_and_b32_e32 v20, 0xfffffc00, v1
	v_sub_u32_e32 v22, v0, v20
	v_ashrrev_i32_e32 v8, 10, v1
	v_cmp_lt_i32_e64 s[20:21], 15, v22
	v_addc_co_u32_e64 v0, vcc, 0, v8, s[20:21]
	v_sub_u32_e32 v21, v0, v7
	v_ashrrev_i32_e32 v7, 31, v6
	v_add_co_u32_e32 v0, vcc, v6, v60
	v_addc_co_u32_e32 v1, vcc, v7, v61, vcc
	v_cmp_lt_i32_e32 vcc, 15, v23
	s_mov_b64 s[60:61], exec
	buffer_load_dword v24, off, s[0:3], s33 offset:260 ; 4-byte Folded Reload
	buffer_load_dword v25, off, s[0:3], s33 offset:264 ; 4-byte Folded Reload
	s_and_b64 s[72:73], s[60:61], vcc
	v_lshlrev_b32_e32 v8, 10, v46
	s_mov_b64 exec, s[72:73]
	s_cbranch_execz .LBB8_1361
; %bb.1352:                             ;   in Loop: Header=BB8_1265 Depth=1
	v_add_co_u32_e32 v18, vcc, v6, v42
	v_addc_co_u32_e32 v19, vcc, v7, v43, vcc
	s_mov_b64 s[74:75], 0
                                        ; implicit-def: $sgpr72_sgpr73
                                        ; implicit-def: $vgpr10_vgpr11
	s_branch .LBB8_1354
.LBB8_1353:                             ;   in Loop: Header=BB8_1354 Depth=2
	s_or_b64 exec, exec, s[76:77]
	v_cmp_gt_i32_e32 vcc, 16, v23
	s_or_b64 s[62:63], vcc, s[62:63]
	s_andn2_b64 s[72:73], s[72:73], exec
	s_and_b64 s[76:77], s[74:75], exec
	s_or_b64 s[72:73], s[72:73], s[76:77]
	s_andn2_b64 exec, exec, s[62:63]
	s_cbranch_execz .LBB8_1360
.LBB8_1354:                             ;   Parent Loop BB8_1265 Depth=1
                                        ; =>  This Inner Loop Header: Depth=2
	global_load_dwordx4 v[14:17], v[18:19], off glc slc
	s_and_saveexec_b64 s[76:77], s[74:75]
	s_cbranch_execz .LBB8_1356
; %bb.1355:                             ;   in Loop: Header=BB8_1354 Depth=2
	v_add_co_u32_e32 v6, vcc, v0, v47
	v_addc_co_u32_e32 v7, vcc, v1, v2, vcc
	global_store_dwordx4 v[0:1], v[10:13], off glc slc
	v_mov_b32_e32 v0, v6
	v_mov_b32_e32 v1, v7
.LBB8_1356:                             ;   in Loop: Header=BB8_1354 Depth=2
	s_or_b64 exec, exec, s[76:77]
	v_add_co_u32_e32 v18, vcc, v18, v47
	v_sub_u32_e32 v23, v23, v8
	v_addc_co_u32_e32 v19, vcc, v19, v2, vcc
	v_cmp_lt_i32_e64 s[74:75], 15, v23
	s_and_saveexec_b64 s[76:77], s[74:75]
	s_cbranch_execz .LBB8_1358
; %bb.1357:                             ;   in Loop: Header=BB8_1354 Depth=2
	global_load_dwordx4 v[10:13], v[18:19], off glc slc
	v_add_co_u32_e32 v18, vcc, 0x400, v18
	v_addc_co_u32_e32 v19, vcc, 0, v19, vcc
.LBB8_1358:                             ;   in Loop: Header=BB8_1354 Depth=2
	s_or_b64 exec, exec, s[76:77]
	s_waitcnt vmcnt(0)
	global_store_dwordx4 v[0:1], v[14:17], off glc slc
	v_add_co_u32_e32 v0, vcc, 0x400, v0
	v_sub_u32_e32 v21, v21, v46
	v_addc_co_u32_e32 v1, vcc, 0, v1, vcc
	s_and_saveexec_b64 s[76:77], s[74:75]
	s_cbranch_execz .LBB8_1353
; %bb.1359:                             ;   in Loop: Header=BB8_1354 Depth=2
	v_add_co_u32_e32 v18, vcc, v18, v24
	v_addc_co_u32_e32 v19, vcc, v19, v25, vcc
	v_add_co_u32_e32 v0, vcc, v0, v24
	v_sub_u32_e32 v21, v21, v46
	v_sub_u32_e32 v23, v23, v8
	v_addc_co_u32_e32 v1, vcc, v1, v25, vcc
	s_branch .LBB8_1353
.LBB8_1360:                             ;   in Loop: Header=BB8_1265 Depth=1
	s_or_b64 exec, exec, s[62:63]
	buffer_load_dword v6, off, s[0:3], s33 offset:208 ; 4-byte Folded Reload
	buffer_load_dword v7, off, s[0:3], s33 offset:212 ; 4-byte Folded Reload
	s_and_b64 s[62:63], s[72:73], exec
	v_mov_b32_e32 v18, v9
	s_waitcnt vmcnt(0)
	v_mov_b32_e32 v14, v7
.LBB8_1361:                             ;   in Loop: Header=BB8_1265 Depth=1
	s_or_b64 exec, exec, s[60:61]
	s_and_saveexec_b64 s[60:61], s[62:63]
	s_cbranch_execz .LBB8_1363
; %bb.1362:                             ;   in Loop: Header=BB8_1265 Depth=1
	global_store_dwordx4 v[0:1], v[10:13], off glc slc
.LBB8_1363:                             ;   in Loop: Header=BB8_1265 Depth=1
	s_or_b64 exec, exec, s[60:61]
	v_and_b32_e32 v1, 14, v3
	v_cndmask_b32_e64 v3, v22, v1, s[20:21]
	v_cmp_ne_u32_e32 vcc, 0, v3
	s_mov_b64 s[62:63], s[56:57]
                                        ; implicit-def: $vgpr12
                                        ; implicit-def: $vgpr13
                                        ; implicit-def: $vgpr0
	s_and_saveexec_b64 s[60:61], vcc
	s_cbranch_execz .LBB8_1365
; %bb.1364:                             ;   in Loop: Header=BB8_1265 Depth=1
	v_sub_u32_e32 v0, v22, v1
	v_cndmask_b32_e64 v0, 0, v0, s[20:21]
	v_cmp_lt_i32_e32 vcc, 0, v21
	v_add3_u32 v12, v20, v4, v0
	v_cndmask_b32_e32 v0, 0, v46, vcc
	v_sub_u32_e32 v0, v0, v21
	v_lshl_add_u32 v1, v0, 6, v5
	v_ashrrev_i32_e32 v0, 31, v1
	v_lshrrev_b32_e32 v0, 26, v0
	v_add_u32_e32 v4, v1, v0
	v_ashrrev_i32_e32 v0, 6, v4
	v_and_b32_e32 v4, 0xffffffc0, v4
	v_sub_u32_e32 v13, v1, v4
	s_or_b64 s[62:63], s[56:57], exec
.LBB8_1365:                             ;   in Loop: Header=BB8_1265 Depth=1
	s_or_b64 exec, exec, s[60:61]
	s_andn2_b64 s[20:21], s[56:57], exec
	s_and_b64 s[56:57], s[62:63], exec
	s_or_b64 s[56:57], s[20:21], s[56:57]
.LBB8_1366:                             ;   in Loop: Header=BB8_1265 Depth=1
	s_or_b64 exec, exec, s[58:59]
	buffer_load_dword v30, off, s[0:3], s33 offset:260 ; 4-byte Folded Reload
	buffer_load_dword v31, off, s[0:3], s33 offset:264 ; 4-byte Folded Reload
	s_and_saveexec_b64 s[20:21], s[56:57]
	s_cbranch_execz .LBB8_1387
.LBB8_1367:                             ;   in Loop: Header=BB8_1265 Depth=1
	s_waitcnt vmcnt(0)
	v_lshlrev_b32_e32 v1, 10, v0
	v_lshlrev_b32_e32 v4, 1, v13
	v_add3_u32 v4, v12, v4, v1
	v_ashrrev_i32_e32 v1, 31, v3
	v_lshrrev_b32_e32 v1, 22, v1
	v_add_u32_e32 v1, v3, v1
	v_mov_b32_e32 v29, v14
	v_ashrrev_i32_e32 v14, 10, v1
	v_sub_u32_e32 v10, v14, v0
	v_ashrrev_i32_e32 v5, 31, v4
	v_add_co_u32_e32 v0, vcc, v60, v4
	v_addc_co_u32_e32 v1, vcc, v61, v5, vcc
	v_mov_b32_e32 v32, v18
	v_cmp_lt_i32_e32 vcc, 0, v10
	s_mov_b64 s[58:59], 0
                                        ; implicit-def: $vgpr15
                                        ; implicit-def: $vgpr16
                                        ; implicit-def: $vgpr17
                                        ; implicit-def: $vgpr18
                                        ; implicit-def: $vgpr19
                                        ; implicit-def: $vgpr20
                                        ; implicit-def: $vgpr21
                                        ; implicit-def: $vgpr22
	s_and_saveexec_b64 s[56:57], vcc
	s_cbranch_execz .LBB8_1375
; %bb.1368:                             ;   in Loop: Header=BB8_1265 Depth=1
	v_add_co_u32_e32 v4, vcc, v4, v42
	v_addc_co_u32_e32 v5, vcc, v5, v43, vcc
	s_mov_b64 s[62:63], 0
                                        ; implicit-def: $sgpr60_sgpr61
                                        ; implicit-def: $vgpr15
                                        ; implicit-def: $vgpr16
                                        ; implicit-def: $vgpr17
                                        ; implicit-def: $vgpr18
                                        ; implicit-def: $vgpr19
                                        ; implicit-def: $vgpr20
                                        ; implicit-def: $vgpr21
                                        ; implicit-def: $vgpr22
	s_branch .LBB8_1370
.LBB8_1369:                             ;   in Loop: Header=BB8_1370 Depth=2
	s_or_b64 exec, exec, s[72:73]
	s_waitcnt vmcnt(0) lgkmcnt(0)
	flat_store_short v[0:1], v6 glc slc
	flat_store_short v[0:1], v7 offset:128 glc slc
	flat_store_short v[0:1], v8 offset:256 glc slc
	;; [unrolled: 1-line block ×7, first 2 shown]
	v_add_co_u32_e32 v0, vcc, v0, v10
	v_addc_co_u32_e32 v1, vcc, v1, v11, vcc
	v_add_co_u32_e32 v0, vcc, s30, v0
	v_addc_co_u32_e32 v1, vcc, 0, v1, vcc
	;; [unrolled: 2-line block ×3, first 2 shown]
	v_sub_u32_e32 v10, v27, v28
	v_cmp_gt_i32_e32 vcc, 1, v10
	s_or_b64 s[58:59], vcc, s[58:59]
	s_andn2_b64 s[60:61], s[60:61], exec
	s_and_b64 s[72:73], s[62:63], exec
	s_or_b64 s[60:61], s[60:61], s[72:73]
	s_andn2_b64 exec, exec, s[58:59]
	s_cbranch_execz .LBB8_1374
.LBB8_1370:                             ;   Parent Loop BB8_1265 Depth=1
                                        ; =>  This Inner Loop Header: Depth=2
	flat_load_ushort v6, v[4:5] glc slc
	flat_load_ushort v7, v[4:5] offset:128 glc slc
	flat_load_ushort v8, v[4:5] offset:256 glc slc
	;; [unrolled: 1-line block ×7, first 2 shown]
	s_and_saveexec_b64 s[72:73], s[62:63]
	s_cbranch_execz .LBB8_1372
; %bb.1371:                             ;   in Loop: Header=BB8_1370 Depth=2
	flat_store_short v[0:1], v15 glc slc
	flat_store_short v[0:1], v16 offset:128 glc slc
	flat_store_short v[0:1], v17 offset:256 glc slc
	;; [unrolled: 1-line block ×7, first 2 shown]
	v_add_co_u32_e32 v0, vcc, v0, v47
	v_addc_co_u32_e32 v1, vcc, v1, v2, vcc
.LBB8_1372:                             ;   in Loop: Header=BB8_1370 Depth=2
	s_or_b64 exec, exec, s[72:73]
	v_add_co_u32_e32 v4, vcc, v4, v47
	v_sub_u32_e32 v27, v10, v46
	v_mov_b32_e32 v10, 0
	v_addc_co_u32_e32 v5, vcc, v5, v2, vcc
	v_mov_b32_e32 v28, 0
	v_mov_b32_e32 v11, 0
	v_cmp_lt_i32_e64 s[62:63], 0, v27
	s_and_saveexec_b64 s[72:73], s[62:63]
	s_cbranch_execz .LBB8_1369
; %bb.1373:                             ;   in Loop: Header=BB8_1370 Depth=2
	flat_load_ushort v15, v[4:5] glc slc
	flat_load_ushort v16, v[4:5] offset:128 glc slc
	flat_load_ushort v17, v[4:5] offset:256 glc slc
	flat_load_ushort v18, v[4:5] offset:384 glc slc
	flat_load_ushort v19, v[4:5] offset:512 glc slc
	flat_load_ushort v20, v[4:5] offset:640 glc slc
	flat_load_ushort v21, v[4:5] offset:768 glc slc
	flat_load_ushort v22, v[4:5] offset:896 glc slc
	v_add_co_u32_e32 v4, vcc, 0x400, v4
	v_mov_b32_e32 v10, v30
	v_addc_co_u32_e32 v5, vcc, 0, v5, vcc
	v_mov_b32_e32 v28, v46
	v_mov_b32_e32 v11, v31
	s_branch .LBB8_1369
.LBB8_1374:                             ;   in Loop: Header=BB8_1265 Depth=1
	s_or_b64 exec, exec, s[58:59]
	s_and_b64 s[58:59], s[60:61], exec
.LBB8_1375:                             ;   in Loop: Header=BB8_1265 Depth=1
	s_or_b64 exec, exec, s[56:57]
	s_and_saveexec_b64 s[56:57], s[58:59]
	s_cbranch_execz .LBB8_1377
; %bb.1376:                             ;   in Loop: Header=BB8_1265 Depth=1
	flat_store_short v[0:1], v15 glc slc
	flat_store_short v[0:1], v16 offset:128 glc slc
	flat_store_short v[0:1], v17 offset:256 glc slc
	;; [unrolled: 1-line block ×7, first 2 shown]
.LBB8_1377:                             ;   in Loop: Header=BB8_1265 Depth=1
	s_or_b64 exec, exec, s[56:57]
	buffer_load_dword v16, off, s[0:3], s33 offset:268 ; 4-byte Folded Reload
	buffer_load_dword v17, off, s[0:3], s33 offset:272 ; 4-byte Folded Reload
	v_lshlrev_b32_e32 v0, 10, v14
	v_cmp_ne_u32_e32 vcc, v3, v0
	s_and_b64 s[56:57], exec, vcc
	v_mov_b32_e32 v14, v29
	v_lshlrev_b32_e32 v15, 7, v46
	v_mov_b32_e32 v18, v32
	s_mov_b64 exec, s[56:57]
	s_cbranch_execz .LBB8_1387
; %bb.1378:                             ;   in Loop: Header=BB8_1265 Depth=1
	v_lshlrev_b32_e32 v1, 6, v10
	v_sub_u32_e32 v1, v13, v1
	v_ashrrev_i32_e32 v4, 31, v1
	v_lshrrev_b32_e32 v4, 26, v4
	v_add_u32_e32 v4, v1, v4
	v_and_b32_e32 v5, 0x7fffffc0, v4
	v_sub_u32_e32 v1, v1, v5
	v_lshlrev_b32_e32 v4, 1, v4
	v_and_b32_e32 v4, 0xffffff80, v4
	v_lshlrev_b32_e32 v1, 1, v1
	v_add3_u32 v0, v4, v1, v0
	v_sub_u32_e32 v6, v3, v0
	v_cmp_lt_i32_e32 vcc, 1, v6
	s_and_b64 exec, exec, vcc
	s_cbranch_execz .LBB8_1387
; %bb.1379:                             ;   in Loop: Header=BB8_1265 Depth=1
	v_add_u32_e32 v4, v0, v12
	v_ashrrev_i32_e32 v5, 31, v4
	v_add_co_u32_e32 v0, vcc, v60, v4
	v_addc_co_u32_e32 v1, vcc, v61, v5, vcc
	v_add_co_u32_e32 v4, vcc, v4, v42
	v_addc_co_u32_e32 v5, vcc, v5, v43, vcc
	s_mov_b64 s[60:61], 0
	s_mov_b64 s[56:57], 0
                                        ; implicit-def: $sgpr58_sgpr59
                                        ; implicit-def: $vgpr12
	s_branch .LBB8_1381
.LBB8_1380:                             ;   in Loop: Header=BB8_1381 Depth=2
	s_or_b64 exec, exec, s[62:63]
	s_waitcnt lgkmcnt(0)
	flat_store_short v[0:1], v7 glc slc
	s_waitcnt vmcnt(0)
	v_add_co_u32_e32 v0, vcc, v0, v10
	v_addc_co_u32_e32 v1, vcc, v1, v11, vcc
	v_add_co_u32_e32 v4, vcc, v4, v10
	v_addc_co_u32_e32 v5, vcc, v5, v11, vcc
	v_add_co_u32_e32 v0, vcc, 0x80, v0
	v_addc_co_u32_e32 v1, vcc, 0, v1, vcc
	v_sub_u32_e32 v6, v6, v8
	v_cmp_gt_i32_e32 vcc, 2, v6
	s_or_b64 s[56:57], vcc, s[56:57]
	s_andn2_b64 s[58:59], s[58:59], exec
	s_and_b64 s[62:63], s[60:61], exec
	s_or_b64 s[58:59], s[58:59], s[62:63]
	s_andn2_b64 exec, exec, s[56:57]
	s_cbranch_execz .LBB8_1385
.LBB8_1381:                             ;   Parent Loop BB8_1265 Depth=1
                                        ; =>  This Inner Loop Header: Depth=2
	flat_load_ushort v7, v[4:5] glc slc
	s_and_saveexec_b64 s[62:63], s[60:61]
	s_cbranch_execz .LBB8_1383
; %bb.1382:                             ;   in Loop: Header=BB8_1381 Depth=2
	s_waitcnt vmcnt(0)
	v_add_co_u32_e32 v8, vcc, v0, v16
	v_addc_co_u32_e32 v9, vcc, v1, v17, vcc
	flat_store_short v[0:1], v12 glc slc
	v_mov_b32_e32 v0, v8
	v_mov_b32_e32 v1, v9
.LBB8_1383:                             ;   in Loop: Header=BB8_1381 Depth=2
	s_or_b64 exec, exec, s[62:63]
	s_waitcnt vmcnt(0)
	v_add_co_u32_e32 v4, vcc, v4, v16
	v_sub_u32_e32 v6, v6, v15
	v_mov_b32_e32 v10, 0
	v_addc_co_u32_e32 v5, vcc, v5, v17, vcc
	v_cmp_lt_i32_e64 s[60:61], 1, v6
	v_mov_b32_e32 v11, 0
	v_mov_b32_e32 v8, 0
	s_and_saveexec_b64 s[62:63], s[60:61]
	s_cbranch_execz .LBB8_1380
; %bb.1384:                             ;   in Loop: Header=BB8_1381 Depth=2
	flat_load_ushort v12, v[4:5] glc slc
	buffer_load_dword v10, off, s[0:3], s33 offset:180 ; 4-byte Folded Reload
	buffer_load_dword v11, off, s[0:3], s33 offset:184 ; 4-byte Folded Reload
	v_add_co_u32_e32 v4, vcc, 0x80, v4
	v_addc_co_u32_e32 v5, vcc, 0, v5, vcc
	v_mov_b32_e32 v8, v15
	s_branch .LBB8_1380
.LBB8_1385:                             ;   in Loop: Header=BB8_1265 Depth=1
	s_or_b64 exec, exec, s[56:57]
	s_and_b64 exec, exec, s[58:59]
	s_cbranch_execz .LBB8_1387
; %bb.1386:                             ;   in Loop: Header=BB8_1265 Depth=1
	flat_store_short v[0:1], v12 glc slc
.LBB8_1387:                             ;   in Loop: Header=BB8_1265 Depth=1
	s_or_b64 exec, exec, s[20:21]
	v_cmp_ne_u32_e64 s[20:21], 0, v18
	s_and_saveexec_b64 s[56:57], s[10:11]
	s_cbranch_execz .LBB8_1406
.LBB8_1388:                             ;   in Loop: Header=BB8_1265 Depth=1
	s_and_saveexec_b64 s[58:59], s[28:29]
	s_xor_b64 s[58:59], exec, s[58:59]
	s_cbranch_execz .LBB8_1403
; %bb.1389:                             ;   in Loop: Header=BB8_1265 Depth=1
	s_and_saveexec_b64 s[60:61], s[12:13]
	s_cbranch_execz .LBB8_1402
; %bb.1390:                             ;   in Loop: Header=BB8_1265 Depth=1
	s_mov_b64 s[72:73], exec
	s_waitcnt vmcnt(0)
	v_mbcnt_lo_u32_b32 v0, s72, 0
	v_mbcnt_hi_u32_b32 v0, s73, v0
	v_cmp_eq_u32_e32 vcc, 0, v0
	s_waitcnt lgkmcnt(0)
	buffer_wbinvl1_vol
	s_and_saveexec_b64 s[62:63], vcc
	s_cbranch_execz .LBB8_1392
; %bb.1391:                             ;   in Loop: Header=BB8_1265 Depth=1
	s_bcnt1_i32_b64 s72, s[72:73]
	v_mov_b32_e32 v13, s72
	ds_add_u64 v0, v[13:14]
	s_trap 2
.LBB8_1392:                             ;   in Loop: Header=BB8_1265 Depth=1
	s_or_b64 exec, exec, s[62:63]
	s_trap 2
	ds_read_b64 v[0:1], v0
	s_waitcnt lgkmcnt(0)
	buffer_load_dword v3, off, s[0:3], s33 offset:128 ; 4-byte Folded Reload
	buffer_load_dword v4, off, s[0:3], s33 offset:132 ; 4-byte Folded Reload
	s_waitcnt vmcnt(1)
	v_add_co_u32_e32 v3, vcc, v3, v46
	s_waitcnt vmcnt(0)
	v_addc_co_u32_e32 v4, vcc, 0, v4, vcc
	buffer_store_dword v3, off, s[0:3], s33 offset:128 ; 4-byte Folded Spill
	s_nop 0
	buffer_store_dword v4, off, s[0:3], s33 offset:132 ; 4-byte Folded Spill
	v_cmp_lt_u64_e32 vcc, v[0:1], v[3:4]
	s_and_saveexec_b64 s[62:63], vcc
	s_cbranch_execz .LBB8_1401
; %bb.1393:                             ;   in Loop: Header=BB8_1265 Depth=1
	s_mov_b32 s92, 0
	s_mov_b64 s[72:73], 0
                                        ; implicit-def: $sgpr74_sgpr75
                                        ; implicit-def: $sgpr76_sgpr77
	s_branch .LBB8_1395
.LBB8_1394:                             ;   in Loop: Header=BB8_1395 Depth=2
	s_or_b64 exec, exec, s[88:89]
	s_and_b64 s[78:79], exec, s[90:91]
	s_or_b64 s[72:73], s[78:79], s[72:73]
	s_andn2_b64 s[74:75], s[74:75], exec
	s_and_b64 s[78:79], s[76:77], exec
	s_or_b64 s[74:75], s[74:75], s[78:79]
	s_andn2_b64 exec, exec, s[72:73]
	s_cbranch_execz .LBB8_1399
.LBB8_1395:                             ;   Parent Loop BB8_1265 Depth=1
                                        ; =>  This Inner Loop Header: Depth=2
	s_add_i32 s92, s92, 1
	s_cmpk_lg_i32 s92, 0x2710
	s_cselect_b64 s[78:79], -1, 0
	s_and_b64 vcc, exec, s[78:79]
	s_cbranch_vccz .LBB8_1397
; %bb.1396:                             ;   in Loop: Header=BB8_1395 Depth=2
	s_mov_b64 s[90:91], -1
	s_or_b64 s[76:77], s[76:77], exec
	s_and_saveexec_b64 s[88:89], s[78:79]
	s_cbranch_execz .LBB8_1394
	s_branch .LBB8_1398
.LBB8_1397:                             ;   in Loop: Header=BB8_1395 Depth=2
	s_trap 2
	ds_read_b64 v[0:1], v0
	s_andn2_b64 s[78:79], s[78:79], exec
	s_mov_b32 s92, 0
	s_waitcnt vmcnt(0) lgkmcnt(0)
	flat_load_dword v0, v[0:1] glc
	s_waitcnt vmcnt(0) lgkmcnt(0)
	buffer_wbinvl1_vol
	v_cmp_eq_u32_e32 vcc, 0, v0
	s_and_b64 s[88:89], vcc, exec
	s_or_b64 s[78:79], s[78:79], s[88:89]
	s_mov_b64 s[90:91], -1
	s_or_b64 s[76:77], s[76:77], exec
	s_and_saveexec_b64 s[88:89], s[78:79]
	s_cbranch_execz .LBB8_1394
.LBB8_1398:                             ;   in Loop: Header=BB8_1395 Depth=2
	s_sleep 1
	s_trap 2
	ds_read_b64 v[0:1], v0
	s_waitcnt lgkmcnt(0)
	buffer_load_dword v3, off, s[0:3], s33 offset:128 ; 4-byte Folded Reload
	buffer_load_dword v4, off, s[0:3], s33 offset:132 ; 4-byte Folded Reload
	s_andn2_b64 s[76:77], s[76:77], exec
	s_waitcnt vmcnt(0)
	v_cmp_ge_u64_e32 vcc, v[0:1], v[3:4]
	s_orn2_b64 s[90:91], vcc, exec
	s_branch .LBB8_1394
.LBB8_1399:                             ;   in Loop: Header=BB8_1265 Depth=1
	s_or_b64 exec, exec, s[72:73]
	s_and_saveexec_b64 s[72:73], s[74:75]
	s_xor_b64 s[72:73], exec, s[72:73]
	s_cbranch_execz .LBB8_1401
; %bb.1400:                             ;   in Loop: Header=BB8_1265 Depth=1
	v_mov_b32_e32 v0, 1
	ds_write_b32 v0, v0
	s_trap 2
.LBB8_1401:                             ;   in Loop: Header=BB8_1265 Depth=1
	s_or_b64 exec, exec, s[62:63]
	;;#ASMSTART
	s_wakeup
	;;#ASMEND
.LBB8_1402:                             ;   in Loop: Header=BB8_1265 Depth=1
	s_or_b64 exec, exec, s[60:61]
.LBB8_1403:                             ;   in Loop: Header=BB8_1265 Depth=1
	s_andn2_saveexec_b64 s[58:59], s[58:59]
	s_cbranch_execz .LBB8_1405
; %bb.1404:                             ;   in Loop: Header=BB8_1265 Depth=1
	s_waitcnt vmcnt(0) lgkmcnt(0)
	buffer_wbinvl1_vol
	s_barrier
.LBB8_1405:                             ;   in Loop: Header=BB8_1265 Depth=1
	s_or_b64 exec, exec, s[58:59]
.LBB8_1406:                             ;   in Loop: Header=BB8_1265 Depth=1
	s_or_b64 exec, exec, s[56:57]
	s_waitcnt vmcnt(0)
	v_and_b32_e32 v0, 16, v62
	v_cmp_ne_u32_e32 vcc, 0, v0
	s_and_b64 s[56:57], vcc, s[20:21]
	s_and_saveexec_b64 s[20:21], s[56:57]
	s_cbranch_execz .LBB8_1408
; %bb.1407:                             ;   in Loop: Header=BB8_1265 Depth=1
	s_waitcnt lgkmcnt(0)
	buffer_wbinvl1_vol
.LBB8_1408:                             ;   in Loop: Header=BB8_1265 Depth=1
	s_or_b64 exec, exec, s[20:21]
	v_cmp_ne_u32_e32 vcc, 0, v0
	s_and_saveexec_b64 s[20:21], vcc
	s_cbranch_execz .LBB8_1412
; %bb.1409:                             ;   in Loop: Header=BB8_1265 Depth=1
	s_and_saveexec_b64 s[56:57], s[18:19]
	s_cbranch_execz .LBB8_1411
; %bb.1410:                             ;   in Loop: Header=BB8_1265 Depth=1
	buffer_load_dword v0, off, s[0:3], s33 offset:216 ; 4-byte Folded Reload
	buffer_load_dword v1, off, s[0:3], s33 offset:220 ; 4-byte Folded Reload
	v_mov_b32_e32 v3, 1
	s_waitcnt vmcnt(0)
	flat_store_dword v[0:1], v3
.LBB8_1411:                             ;   in Loop: Header=BB8_1265 Depth=1
	s_or_b64 exec, exec, s[56:57]
	v_mov_b32_e32 v3, v54
	v_mov_b32_e32 v5, v56
	;; [unrolled: 1-line block ×3, first 2 shown]
	v_add_co_u32_e32 v5, vcc, 1, v5
	v_addc_co_u32_e32 v6, vcc, 0, v6, vcc
	v_mov_b32_e32 v4, v55
	v_mov_b32_e32 v57, v6
	;; [unrolled: 1-line block ×5, first 2 shown]
	flat_store_dwordx2 v[40:41], v[5:6]
.LBB8_1412:                             ;   in Loop: Header=BB8_1265 Depth=1
	s_or_b64 exec, exec, s[20:21]
	v_mov_b32_e32 v0, v53
.LBB8_1413:                             ;   in Loop: Header=BB8_1265 Depth=1
	s_or_b64 exec, exec, s[46:47]
	s_and_saveexec_b64 s[46:47], s[44:45]
	s_cbranch_execz .LBB8_1264
; %bb.1414:                             ;   in Loop: Header=BB8_1265 Depth=1
	v_sub_u32_e32 v0, v52, v0
	v_min_i32_e32 v10, v53, v0
	v_and_b32_e32 v0, 8, v62
	v_cmp_ne_u32_e32 vcc, 0, v0
	s_and_saveexec_b64 s[44:45], vcc
	s_cbranch_execz .LBB8_1436
; %bb.1415:                             ;   in Loop: Header=BB8_1265 Depth=1
	v_add_co_u32_e32 v3, vcc, 8, v44
	v_mov_b32_e32 v5, v54
	v_addc_co_u32_e32 v4, vcc, 0, v45, vcc
	v_mov_b32_e32 v7, v56
	v_mov_b32_e32 v8, v57
	v_add_co_u32_e32 v0, vcc, 1, v7
	v_addc_co_u32_e32 v1, vcc, 0, v8, vcc
	v_cmp_lt_u64_e32 vcc, v[3:4], v[0:1]
	v_mov_b32_e32 v6, v55
	s_and_saveexec_b64 s[56:57], vcc
	s_cbranch_execz .LBB8_1427
; %bb.1416:                             ;   in Loop: Header=BB8_1265 Depth=1
	v_and_b32_e32 v3, 64, v62
	s_mov_b32 s92, 0
	v_cmp_eq_u32_e32 vcc, 0, v3
	s_mov_b64 s[58:59], 0
                                        ; implicit-def: $sgpr60_sgpr61
                                        ; implicit-def: $sgpr62_sgpr63
                                        ; implicit-def: $sgpr72_sgpr73
	s_branch .LBB8_1420
.LBB8_1417:                             ;   in Loop: Header=BB8_1420 Depth=2
	s_waitcnt vmcnt(0) lgkmcnt(0)
	v_add_co_u32_e64 v4, s[20:21], 8, v44
	v_addc_co_u32_e64 v5, s[20:21], 0, v45, s[20:21]
	v_cmp_ge_u64_e64 s[20:21], v[4:5], v[0:1]
	s_or_b64 s[78:79], s[78:79], exec
	s_orn2_b64 s[76:77], s[20:21], exec
.LBB8_1418:                             ;   in Loop: Header=BB8_1420 Depth=2
	s_or_b64 exec, exec, s[90:91]
	s_andn2_b64 s[20:21], s[72:73], exec
	s_and_b64 s[72:73], s[78:79], exec
	s_or_b64 s[72:73], s[20:21], s[72:73]
	s_andn2_b64 s[20:21], s[62:63], exec
	s_and_b64 s[62:63], s[76:77], exec
	s_or_b64 s[62:63], s[20:21], s[62:63]
.LBB8_1419:                             ;   in Loop: Header=BB8_1420 Depth=2
	s_or_b64 exec, exec, s[74:75]
	s_and_b64 s[20:21], exec, s[62:63]
	s_or_b64 s[58:59], s[20:21], s[58:59]
	s_andn2_b64 s[20:21], s[60:61], exec
	s_and_b64 s[60:61], s[72:73], exec
	s_or_b64 s[60:61], s[20:21], s[60:61]
	s_andn2_b64 exec, exec, s[58:59]
	s_cbranch_execz .LBB8_1424
.LBB8_1420:                             ;   Parent Loop BB8_1265 Depth=1
                                        ; =>  This Inner Loop Header: Depth=2
	s_sleep 1
	s_waitcnt vmcnt(0) lgkmcnt(0)
	flat_load_dwordx2 v[44:45], v[40:41] glc
	s_or_b64 s[72:73], s[72:73], exec
	s_or_b64 s[62:63], s[62:63], exec
                                        ; implicit-def: $vgpr3
	s_and_saveexec_b64 s[74:75], vcc
	s_cbranch_execz .LBB8_1419
; %bb.1421:                             ;   in Loop: Header=BB8_1420 Depth=2
	s_cmpk_lt_i32 s92, 0x270f
	s_cselect_b64 s[88:89], -1, 0
	s_cmpk_gt_i32 s92, 0x270e
	s_mov_b64 s[76:77], -1
	s_cbranch_scc0 .LBB8_1423
; %bb.1422:                             ;   in Loop: Header=BB8_1420 Depth=2
	s_trap 2
	ds_read_b64 v[3:4], v0
	s_andn2_b64 s[88:89], s[88:89], exec
	s_mov_b32 s92, 0
	s_mov_b64 s[78:79], 0
	s_waitcnt vmcnt(0) lgkmcnt(0)
	flat_load_dword v3, v[3:4] glc
	s_waitcnt vmcnt(0) lgkmcnt(0)
	buffer_wbinvl1_vol
	v_cmp_eq_u32_e64 s[20:21], 0, v3
	s_and_b64 s[20:21], s[20:21], exec
	s_or_b64 s[88:89], s[88:89], s[20:21]
	s_and_saveexec_b64 s[90:91], s[88:89]
	s_cbranch_execz .LBB8_1418
	s_branch .LBB8_1417
.LBB8_1423:                             ;   in Loop: Header=BB8_1420 Depth=2
	s_add_i32 s92, s92, 1
	s_mov_b64 s[78:79], -1
                                        ; implicit-def: $vgpr3
	s_and_saveexec_b64 s[90:91], s[88:89]
	s_cbranch_execz .LBB8_1418
	s_branch .LBB8_1417
.LBB8_1424:                             ;   in Loop: Header=BB8_1265 Depth=1
	s_or_b64 exec, exec, s[58:59]
	s_xor_b64 s[20:21], s[60:61], -1
	s_and_saveexec_b64 s[58:59], s[20:21]
	s_xor_b64 s[20:21], exec, s[58:59]
	s_cbranch_execz .LBB8_1426
; %bb.1425:                             ;   in Loop: Header=BB8_1265 Depth=1
	v_or_b32_e32 v62, 64, v62
	s_waitcnt lgkmcnt(0)
	ds_write_b32 v0, v3
	s_trap 2
.LBB8_1426:                             ;   in Loop: Header=BB8_1265 Depth=1
	s_or_b64 exec, exec, s[20:21]
.LBB8_1427:                             ;   in Loop: Header=BB8_1265 Depth=1
	s_or_b64 exec, exec, s[56:57]
	v_and_b32_e32 v3, 0x100, v62
	v_cmp_ne_u32_e32 vcc, 0, v3
	v_and_b32_e32 v3, 7, v56
	s_mov_b64 s[20:21], -1
	;;#ASMSTART
	s_wakeup
	;;#ASMEND
                                        ; implicit-def: $vgpr4_vgpr5
	s_and_saveexec_b64 s[56:57], vcc
	s_cbranch_execz .LBB8_1431
; %bb.1428:                             ;   in Loop: Header=BB8_1265 Depth=1
	v_mad_u64_u32 v[8:9], s[20:21], v3, 24, v[54:55]
	v_ashrrev_i32_e32 v11, 31, v10
	v_lshlrev_b64 v[4:5], 1, v[10:11]
	flat_load_dword v6, v[8:9]
	s_waitcnt vmcnt(0) lgkmcnt(0)
	v_cmp_ne_u32_e32 vcc, 1, v6
	v_cmp_eq_u32_e64 s[20:21], 1, v6
	flat_store_dwordx2 v[8:9], v[4:5] offset:8
                                        ; implicit-def: $vgpr4_vgpr5
	s_and_saveexec_b64 s[58:59], s[20:21]
	s_cbranch_execz .LBB8_1430
; %bb.1429:                             ;   in Loop: Header=BB8_1265 Depth=1
	flat_load_dword v4, v[8:9] offset:4 glc
	s_waitcnt vmcnt(0) lgkmcnt(0)
	v_ashrrev_i32_e32 v5, 31, v4
	v_lshrrev_b64 v[4:5], 1, v[4:5]
.LBB8_1430:                             ;   in Loop: Header=BB8_1265 Depth=1
	s_or_b64 exec, exec, s[58:59]
	s_orn2_b64 s[20:21], vcc, exec
.LBB8_1431:                             ;   in Loop: Header=BB8_1265 Depth=1
	s_or_b64 exec, exec, s[56:57]
	s_and_saveexec_b64 s[56:57], s[20:21]
	s_cbranch_execz .LBB8_1433
; %bb.1432:                             ;   in Loop: Header=BB8_1265 Depth=1
	buffer_load_dword v4, off, s[0:3], s33 offset:232 ; 4-byte Folded Reload
	s_waitcnt vmcnt(0)
	v_mad_i64_i32 v[4:5], s[20:21], v3, v4, 0
.LBB8_1433:                             ;   in Loop: Header=BB8_1265 Depth=1
	s_or_b64 exec, exec, s[56:57]
	v_lshlrev_b64 v[3:4], 1, v[4:5]
	buffer_load_dword v5, off, s[0:3], s33 offset:200 ; 4-byte Folded Reload
	buffer_load_dword v6, off, s[0:3], s33 offset:204 ; 4-byte Folded Reload
	s_waitcnt vmcnt(0)
	v_add_co_u32_e32 v3, vcc, v5, v3
	v_addc_co_u32_e32 v4, vcc, v6, v4, vcc
	ds_write_b64 v0, v[3:4] offset:784
	v_and_b32_e32 v3, 0x2000, v62
	v_cmp_ne_u32_e32 vcc, 0, v3
	s_and_saveexec_b64 s[20:21], vcc
	s_cbranch_execz .LBB8_1435
; %bb.1434:                             ;   in Loop: Header=BB8_1265 Depth=1
	ds_read_b64 v[3:4], v0 offset:872
	s_waitcnt lgkmcnt(0)
	v_add_co_u32_e32 v3, vcc, 1, v3
	v_addc_co_u32_e32 v4, vcc, 0, v4, vcc
	ds_write_b64 v0, v[3:4] offset:872
.LBB8_1435:                             ;   in Loop: Header=BB8_1265 Depth=1
	s_or_b64 exec, exec, s[20:21]
	v_mov_b32_e32 v57, v1
	v_mov_b32_e32 v56, v0
.LBB8_1436:                             ;   in Loop: Header=BB8_1265 Depth=1
	s_or_b64 exec, exec, s[44:45]
	s_and_saveexec_b64 s[20:21], s[10:11]
	s_cbranch_execz .LBB8_1455
; %bb.1437:                             ;   in Loop: Header=BB8_1265 Depth=1
	s_and_saveexec_b64 s[44:45], s[28:29]
	s_xor_b64 s[44:45], exec, s[44:45]
	s_cbranch_execz .LBB8_1452
; %bb.1438:                             ;   in Loop: Header=BB8_1265 Depth=1
	s_and_saveexec_b64 s[56:57], s[12:13]
	s_cbranch_execz .LBB8_1451
; %bb.1439:                             ;   in Loop: Header=BB8_1265 Depth=1
	s_mov_b64 s[60:61], exec
	v_mbcnt_lo_u32_b32 v0, s60, 0
	v_mbcnt_hi_u32_b32 v0, s61, v0
	v_cmp_eq_u32_e32 vcc, 0, v0
	s_waitcnt vmcnt(0) lgkmcnt(0)
	buffer_wbinvl1_vol
	s_and_saveexec_b64 s[58:59], vcc
	s_cbranch_execz .LBB8_1441
; %bb.1440:                             ;   in Loop: Header=BB8_1265 Depth=1
	s_bcnt1_i32_b64 s60, s[60:61]
	v_mov_b32_e32 v13, s60
	ds_add_u64 v0, v[13:14]
	s_trap 2
.LBB8_1441:                             ;   in Loop: Header=BB8_1265 Depth=1
	s_or_b64 exec, exec, s[58:59]
	s_trap 2
	ds_read_b64 v[0:1], v0
	s_waitcnt lgkmcnt(0)
	buffer_load_dword v3, off, s[0:3], s33 offset:128 ; 4-byte Folded Reload
	buffer_load_dword v4, off, s[0:3], s33 offset:132 ; 4-byte Folded Reload
	s_waitcnt vmcnt(1)
	v_add_co_u32_e32 v3, vcc, v3, v46
	s_waitcnt vmcnt(0)
	v_addc_co_u32_e32 v4, vcc, 0, v4, vcc
	buffer_store_dword v3, off, s[0:3], s33 offset:128 ; 4-byte Folded Spill
	s_nop 0
	buffer_store_dword v4, off, s[0:3], s33 offset:132 ; 4-byte Folded Spill
	v_cmp_lt_u64_e32 vcc, v[0:1], v[3:4]
	s_and_saveexec_b64 s[58:59], vcc
	s_cbranch_execz .LBB8_1450
; %bb.1442:                             ;   in Loop: Header=BB8_1265 Depth=1
	s_mov_b32 s88, 0
	s_mov_b64 s[60:61], 0
                                        ; implicit-def: $sgpr62_sgpr63
                                        ; implicit-def: $sgpr72_sgpr73
	s_branch .LBB8_1444
.LBB8_1443:                             ;   in Loop: Header=BB8_1444 Depth=2
	s_or_b64 exec, exec, s[76:77]
	s_and_b64 s[74:75], exec, s[78:79]
	s_or_b64 s[60:61], s[74:75], s[60:61]
	s_andn2_b64 s[62:63], s[62:63], exec
	s_and_b64 s[74:75], s[72:73], exec
	s_or_b64 s[62:63], s[62:63], s[74:75]
	s_andn2_b64 exec, exec, s[60:61]
	s_cbranch_execz .LBB8_1448
.LBB8_1444:                             ;   Parent Loop BB8_1265 Depth=1
                                        ; =>  This Inner Loop Header: Depth=2
	s_add_i32 s88, s88, 1
	s_cmpk_lg_i32 s88, 0x2710
	s_cselect_b64 s[74:75], -1, 0
	s_and_b64 vcc, exec, s[74:75]
	s_cbranch_vccz .LBB8_1446
; %bb.1445:                             ;   in Loop: Header=BB8_1444 Depth=2
	s_mov_b64 s[78:79], -1
	s_or_b64 s[72:73], s[72:73], exec
	s_and_saveexec_b64 s[76:77], s[74:75]
	s_cbranch_execz .LBB8_1443
	s_branch .LBB8_1447
.LBB8_1446:                             ;   in Loop: Header=BB8_1444 Depth=2
	s_trap 2
	ds_read_b64 v[0:1], v0
	s_andn2_b64 s[74:75], s[74:75], exec
	s_mov_b32 s88, 0
	s_waitcnt vmcnt(0) lgkmcnt(0)
	flat_load_dword v0, v[0:1] glc
	s_waitcnt vmcnt(0) lgkmcnt(0)
	buffer_wbinvl1_vol
	v_cmp_eq_u32_e32 vcc, 0, v0
	s_and_b64 s[76:77], vcc, exec
	s_or_b64 s[74:75], s[74:75], s[76:77]
	s_mov_b64 s[78:79], -1
	s_or_b64 s[72:73], s[72:73], exec
	s_and_saveexec_b64 s[76:77], s[74:75]
	s_cbranch_execz .LBB8_1443
.LBB8_1447:                             ;   in Loop: Header=BB8_1444 Depth=2
	s_sleep 1
	s_trap 2
	ds_read_b64 v[0:1], v0
	s_waitcnt lgkmcnt(0)
	buffer_load_dword v3, off, s[0:3], s33 offset:128 ; 4-byte Folded Reload
	buffer_load_dword v4, off, s[0:3], s33 offset:132 ; 4-byte Folded Reload
	s_andn2_b64 s[72:73], s[72:73], exec
	s_waitcnt vmcnt(0)
	v_cmp_ge_u64_e32 vcc, v[0:1], v[3:4]
	s_orn2_b64 s[78:79], vcc, exec
	s_branch .LBB8_1443
.LBB8_1448:                             ;   in Loop: Header=BB8_1265 Depth=1
	s_or_b64 exec, exec, s[60:61]
	s_and_saveexec_b64 s[60:61], s[62:63]
	s_xor_b64 s[60:61], exec, s[60:61]
	s_cbranch_execz .LBB8_1450
; %bb.1449:                             ;   in Loop: Header=BB8_1265 Depth=1
	v_mov_b32_e32 v0, 1
	ds_write_b32 v0, v0
	s_trap 2
.LBB8_1450:                             ;   in Loop: Header=BB8_1265 Depth=1
	s_or_b64 exec, exec, s[58:59]
	;;#ASMSTART
	s_wakeup
	;;#ASMEND
.LBB8_1451:                             ;   in Loop: Header=BB8_1265 Depth=1
	s_or_b64 exec, exec, s[56:57]
.LBB8_1452:                             ;   in Loop: Header=BB8_1265 Depth=1
	s_andn2_saveexec_b64 s[44:45], s[44:45]
	s_cbranch_execz .LBB8_1454
; %bb.1453:                             ;   in Loop: Header=BB8_1265 Depth=1
	s_waitcnt vmcnt(0) lgkmcnt(0)
	buffer_wbinvl1_vol
	s_barrier
.LBB8_1454:                             ;   in Loop: Header=BB8_1265 Depth=1
	s_or_b64 exec, exec, s[44:45]
.LBB8_1455:                             ;   in Loop: Header=BB8_1265 Depth=1
	s_or_b64 exec, exec, s[20:21]
	s_trap 2
	ds_read_b32 v1, v0
	v_cmp_lt_i32_e32 vcc, 0, v10
	v_and_b32_e32 v0, 16, v62
	s_waitcnt lgkmcnt(0)
	v_readfirstlane_b32 s20, v1
	s_cmp_eq_u32 s20, 0
	s_cselect_b64 s[20:21], -1, 0
	s_and_b64 s[20:21], vcc, s[20:21]
	v_cmp_ne_u32_e32 vcc, 0, v0
	s_and_b64 s[44:45], vcc, s[20:21]
	s_and_saveexec_b64 s[20:21], s[44:45]
	s_cbranch_execz .LBB8_1457
; %bb.1456:                             ;   in Loop: Header=BB8_1265 Depth=1
	s_waitcnt vmcnt(0)
	buffer_wbinvl1_vol
.LBB8_1457:                             ;   in Loop: Header=BB8_1265 Depth=1
	s_or_b64 exec, exec, s[20:21]
	v_cmp_ne_u32_e32 vcc, 0, v0
	s_and_saveexec_b64 s[20:21], vcc
	s_cbranch_execz .LBB8_1263
; %bb.1458:                             ;   in Loop: Header=BB8_1265 Depth=1
	s_and_saveexec_b64 s[44:45], s[18:19]
	s_cbranch_execz .LBB8_1262
; %bb.1459:                             ;   in Loop: Header=BB8_1265 Depth=1
	buffer_load_dword v0, off, s[0:3], s33 offset:216 ; 4-byte Folded Reload
	buffer_load_dword v1, off, s[0:3], s33 offset:220 ; 4-byte Folded Reload
	v_mov_b32_e32 v3, 1
	s_waitcnt vmcnt(0)
	flat_store_dword v[0:1], v3
	s_branch .LBB8_1262
.LBB8_1460:
	s_or_b64 exec, exec, s[40:41]
	buffer_load_dword v21, off, s[0:3], s33 offset:276 ; 4-byte Folded Reload
	buffer_load_dword v31, off, s[0:3], s33 offset:280 ; 4-byte Folded Reload
	;; [unrolled: 1-line block ×5, first 2 shown]
	v_mov_b32_e32 v27, v62
.LBB8_1461:
	s_or_b64 exec, exec, s[26:27]
.LBB8_1462:
	s_or_b64 exec, exec, s[22:23]
	v_and_b32_e32 v0, 0x800, v27
	v_cmp_eq_u32_e32 vcc, 0, v0
	s_and_saveexec_b64 s[6:7], vcc
	s_cbranch_execz .LBB8_1495
; %bb.1463:
	v_and_b32_e32 v0, 48, v27
	v_cmp_ne_u32_e32 vcc, 0, v0
	s_and_saveexec_b64 s[4:5], vcc
	s_cbranch_execz .LBB8_1465
; %bb.1464:
	s_waitcnt vmcnt(0)
	flat_store_dwordx2 v[24:25], v[56:57] offset:104
.LBB8_1465:
	s_or_b64 exec, exec, s[4:5]
	s_movk_i32 s4, 0x88
	v_and_b32_e32 v0, 0x88, v27
	v_cmp_eq_u32_e32 vcc, s4, v0
	s_and_saveexec_b64 s[10:11], vcc
	s_cbranch_execz .LBB8_1475
; %bb.1466:
	s_waitcnt vmcnt(0)
	v_add_u32_e32 v0, -1, v56
	v_and_b32_e32 v0, 7, v0
	v_mad_u64_u32 v[0:1], s[4:5], v0, 24, v[54:55]
	v_and_b32_e32 v4, 64, v27
	v_cmp_eq_u32_e64 s[4:5], 0, v4
	flat_load_dwordx2 v[2:3], v[0:1] offset:8 glc
	s_waitcnt vmcnt(0)
	s_mov_b32 s22, 0
	s_waitcnt lgkmcnt(0)
	v_cmp_ne_u64_e32 vcc, -1, v[2:3]
	s_and_b64 s[4:5], vcc, s[4:5]
	s_and_b64 exec, exec, s[4:5]
	s_cbranch_execz .LBB8_1475
; %bb.1467:
	s_mov_b64 s[4:5], 0
                                        ; implicit-def: $sgpr12_sgpr13
                                        ; implicit-def: $sgpr14_sgpr15
	s_branch .LBB8_1470
.LBB8_1468:                             ;   in Loop: Header=BB8_1470 Depth=1
	flat_load_dwordx2 v[3:4], v[0:1] offset:8 glc
	s_waitcnt vmcnt(0)
	s_andn2_b64 s[14:15], s[14:15], exec
	s_waitcnt lgkmcnt(0)
	v_cmp_eq_u64_e32 vcc, -1, v[3:4]
	s_orn2_b64 s[18:19], vcc, exec
.LBB8_1469:                             ;   in Loop: Header=BB8_1470 Depth=1
	s_or_b64 exec, exec, s[20:21]
	s_and_b64 s[16:17], exec, s[18:19]
	s_or_b64 s[4:5], s[16:17], s[4:5]
	s_andn2_b64 s[12:13], s[12:13], exec
	s_and_b64 s[16:17], s[14:15], exec
	s_or_b64 s[12:13], s[12:13], s[16:17]
	s_andn2_b64 exec, exec, s[4:5]
	s_cbranch_execz .LBB8_1473
.LBB8_1470:                             ; =>This Inner Loop Header: Depth=1
	s_cmpk_lt_i32 s22, 0x270f
	s_cselect_b64 s[16:17], -1, 0
	s_and_b64 vcc, exec, s[16:17]
	s_cbranch_vccnz .LBB8_1472
; %bb.1471:                             ;   in Loop: Header=BB8_1470 Depth=1
	s_trap 2
	ds_read_b64 v[2:3], v0
	s_andn2_b64 s[16:17], s[16:17], exec
	s_mov_b32 s22, 0
	s_waitcnt lgkmcnt(0)
	flat_load_dword v2, v[2:3] glc
	s_waitcnt vmcnt(0) lgkmcnt(0)
	buffer_wbinvl1_vol
	v_cmp_eq_u32_e32 vcc, 0, v2
	s_and_b64 s[18:19], vcc, exec
	s_or_b64 s[16:17], s[16:17], s[18:19]
	s_mov_b64 s[18:19], -1
	s_or_b64 s[14:15], s[14:15], exec
	s_and_saveexec_b64 s[20:21], s[16:17]
	s_cbranch_execz .LBB8_1469
	s_branch .LBB8_1468
.LBB8_1472:                             ;   in Loop: Header=BB8_1470 Depth=1
	s_add_i32 s22, s22, 1
                                        ; implicit-def: $vgpr2
	s_mov_b64 s[18:19], -1
	s_or_b64 s[14:15], s[14:15], exec
	s_and_saveexec_b64 s[20:21], s[16:17]
	s_cbranch_execz .LBB8_1469
	s_branch .LBB8_1468
.LBB8_1473:
	s_or_b64 exec, exec, s[4:5]
	s_and_saveexec_b64 s[4:5], s[12:13]
	s_xor_b64 s[4:5], exec, s[4:5]
	s_cbranch_execz .LBB8_1475
; %bb.1474:
	ds_write_b32 v0, v2
	s_trap 2
.LBB8_1475:
	s_or_b64 exec, exec, s[10:11]
	v_and_b32_e32 v0, 0x2000, v27
	v_cmp_ne_u32_e32 vcc, 0, v0
	s_and_saveexec_b64 s[4:5], vcc
	s_cbranch_execz .LBB8_1477
; %bb.1476:
	s_trap 2
	ds_read_b64 v[0:1], v0
	buffer_load_dword v2, off, s[0:3], s33 offset:336 ; 4-byte Folded Reload
	buffer_load_dword v3, off, s[0:3], s33 offset:340 ; 4-byte Folded Reload
	s_waitcnt vmcnt(0) lgkmcnt(0)
	flat_store_dwordx2 v[2:3], v[0:1] offset:16
.LBB8_1477:
	s_or_b64 exec, exec, s[4:5]
	s_waitcnt vmcnt(0)
	v_cmp_ne_u32_e32 vcc, 64, v21
	s_and_b64 exec, exec, vcc
	s_cbranch_execz .LBB8_1495
; %bb.1478:
	v_cmp_ne_u32_sdwa s[4:5], v21, v8 src0_sel:DWORD src1_sel:WORD_0
	s_and_saveexec_b64 s[10:11], s[4:5]
	s_xor_b64 s[4:5], exec, s[10:11]
	s_cbranch_execz .LBB8_1493
; %bb.1479:
	v_and_b32_e32 v0, 63, v31
	v_cmp_eq_u32_e32 vcc, 0, v0
	s_and_saveexec_b64 s[10:11], vcc
	s_cbranch_execz .LBB8_1492
; %bb.1480:
	s_mov_b64 s[14:15], exec
	v_mbcnt_lo_u32_b32 v0, s14, 0
	v_mbcnt_hi_u32_b32 v0, s15, v0
	v_cmp_eq_u32_e32 vcc, 0, v0
	s_waitcnt lgkmcnt(0)
	buffer_wbinvl1_vol
	s_and_saveexec_b64 s[12:13], vcc
	s_cbranch_execz .LBB8_1482
; %bb.1481:
	s_bcnt1_i32_b64 s14, s[14:15]
	v_mov_b32_e32 v0, s14
	v_mov_b32_e32 v1, 0
	ds_add_u64 v0, v[0:1]
	s_trap 2
.LBB8_1482:
	s_or_b64 exec, exec, s[12:13]
	v_lshrrev_b32_e32 v0, 6, v21
	s_trap 2
	ds_read_b64 v[2:3], v0
	s_waitcnt lgkmcnt(0)
	buffer_load_dword v4, off, s[0:3], s33 offset:128 ; 4-byte Folded Reload
	buffer_load_dword v5, off, s[0:3], s33 offset:132 ; 4-byte Folded Reload
	s_waitcnt vmcnt(1)
	v_add_co_u32_e32 v0, vcc, v4, v0
	s_waitcnt vmcnt(0)
	v_addc_co_u32_e32 v1, vcc, 0, v5, vcc
	v_cmp_lt_u64_e32 vcc, v[2:3], v[0:1]
	s_and_saveexec_b64 s[12:13], vcc
	s_cbranch_execz .LBB8_1491
; %bb.1483:
	s_mov_b32 s28, 0
	s_mov_b64 s[14:15], 0
                                        ; implicit-def: $sgpr16_sgpr17
                                        ; implicit-def: $sgpr18_sgpr19
	s_branch .LBB8_1485
.LBB8_1484:                             ;   in Loop: Header=BB8_1485 Depth=1
	s_or_b64 exec, exec, s[22:23]
	s_and_b64 s[20:21], exec, s[26:27]
	s_or_b64 s[14:15], s[20:21], s[14:15]
	s_andn2_b64 s[16:17], s[16:17], exec
	s_and_b64 s[20:21], s[18:19], exec
	s_or_b64 s[16:17], s[16:17], s[20:21]
	s_andn2_b64 exec, exec, s[14:15]
	s_cbranch_execz .LBB8_1489
.LBB8_1485:                             ; =>This Inner Loop Header: Depth=1
	s_add_i32 s28, s28, 1
	s_cmpk_lg_i32 s28, 0x2710
	s_cselect_b64 s[20:21], -1, 0
	s_and_b64 vcc, exec, s[20:21]
	s_cbranch_vccz .LBB8_1487
; %bb.1486:                             ;   in Loop: Header=BB8_1485 Depth=1
	s_mov_b64 s[26:27], -1
	s_or_b64 s[18:19], s[18:19], exec
	s_and_saveexec_b64 s[22:23], s[20:21]
	s_cbranch_execz .LBB8_1484
	s_branch .LBB8_1488
.LBB8_1487:                             ;   in Loop: Header=BB8_1485 Depth=1
	s_trap 2
	ds_read_b64 v[2:3], v0
	s_andn2_b64 s[20:21], s[20:21], exec
	s_mov_b32 s28, 0
	s_waitcnt lgkmcnt(0)
	flat_load_dword v2, v[2:3] glc
	s_waitcnt vmcnt(0) lgkmcnt(0)
	buffer_wbinvl1_vol
	v_cmp_eq_u32_e32 vcc, 0, v2
	s_and_b64 s[22:23], vcc, exec
	s_or_b64 s[20:21], s[20:21], s[22:23]
	s_mov_b64 s[26:27], -1
	s_or_b64 s[18:19], s[18:19], exec
	s_and_saveexec_b64 s[22:23], s[20:21]
	s_cbranch_execz .LBB8_1484
.LBB8_1488:                             ;   in Loop: Header=BB8_1485 Depth=1
	s_sleep 1
	s_trap 2
	ds_read_b64 v[2:3], v0
	s_waitcnt lgkmcnt(0)
	s_andn2_b64 s[18:19], s[18:19], exec
	v_cmp_ge_u64_e32 vcc, v[2:3], v[0:1]
	s_orn2_b64 s[26:27], vcc, exec
	s_branch .LBB8_1484
.LBB8_1489:
	s_or_b64 exec, exec, s[14:15]
	s_and_saveexec_b64 s[14:15], s[16:17]
	s_xor_b64 s[14:15], exec, s[14:15]
	s_cbranch_execz .LBB8_1491
; %bb.1490:
	v_mov_b32_e32 v0, 1
	ds_write_b32 v0, v0
	s_trap 2
.LBB8_1491:
	s_or_b64 exec, exec, s[12:13]
	;;#ASMSTART
	s_wakeup
	;;#ASMEND
.LBB8_1492:
	s_or_b64 exec, exec, s[10:11]
.LBB8_1493:
	s_andn2_saveexec_b64 s[4:5], s[4:5]
	s_cbranch_execz .LBB8_1495
; %bb.1494:
	s_waitcnt lgkmcnt(0)
	buffer_wbinvl1_vol
	s_barrier
.LBB8_1495:
	s_or_b64 exec, exec, s[6:7]
.LBB8_1496:
	s_andn2_saveexec_b64 s[26:27], s[24:25]
	s_cbranch_execz .LBB8_1498
; %bb.1497:
	s_getpc_b64 s[4:5]
	s_add_u32 s4, s4, __PRETTY_FUNCTION__._ZN10PrimitivesI12hip_bfloat167FuncSumIS0_E12FanSymmetricILi1EELi0E11ProtoSimpleILi1ELi1ELi0ELi2ELi0ELi0EELi0ELb0ELi0ELi1ELi0EEC2EiiPKiS9_PKvPvmhhhP15ncclDevWorkCollP14ncclDevWorkP2pii@rel32@lo+4
	s_addc_u32 s5, s5, __PRETTY_FUNCTION__._ZN10PrimitivesI12hip_bfloat167FuncSumIS0_E12FanSymmetricILi1EELi0E11ProtoSimpleILi1ELi1ELi0ELi2ELi0ELi0EELi0ELb0ELi0ELi1ELi0EEC2EiiPKiS9_PKvPvmhhhP15ncclDevWorkCollP14ncclDevWorkP2pii@rel32@hi+12
	s_getpc_b64 s[6:7]
	s_add_u32 s6, s6, __assert_fail@rel32@lo+4
	s_addc_u32 s7, s7, __assert_fail@rel32@hi+12
	v_mov_b32_e32 v0, s4
	v_mov_b32_e32 v1, s5
	s_swappc_b64 s[30:31], s[6:7]
	; divergent unreachable
.LBB8_1498:
	s_or_b64 exec, exec, s[26:27]
	buffer_load_dword v62, off, s[0:3], s33 ; 4-byte Folded Reload
	buffer_load_dword v61, off, s[0:3], s33 offset:4 ; 4-byte Folded Reload
	buffer_load_dword v60, off, s[0:3], s33 offset:8 ; 4-byte Folded Reload
	buffer_load_dword v59, off, s[0:3], s33 offset:12 ; 4-byte Folded Reload
	buffer_load_dword v58, off, s[0:3], s33 offset:16 ; 4-byte Folded Reload
	buffer_load_dword v57, off, s[0:3], s33 offset:20 ; 4-byte Folded Reload
	buffer_load_dword v56, off, s[0:3], s33 offset:24 ; 4-byte Folded Reload
	buffer_load_dword v47, off, s[0:3], s33 offset:28 ; 4-byte Folded Reload
	buffer_load_dword v46, off, s[0:3], s33 offset:32 ; 4-byte Folded Reload
	buffer_load_dword v45, off, s[0:3], s33 offset:36 ; 4-byte Folded Reload
	buffer_load_dword v44, off, s[0:3], s33 offset:40 ; 4-byte Folded Reload
	buffer_load_dword v43, off, s[0:3], s33 offset:44 ; 4-byte Folded Reload
	buffer_load_dword v42, off, s[0:3], s33 offset:48 ; 4-byte Folded Reload
	buffer_load_dword v41, off, s[0:3], s33 offset:52 ; 4-byte Folded Reload
	buffer_load_dword v40, off, s[0:3], s33 offset:56 ; 4-byte Folded Reload
	v_readlane_b32 s30, v63, 8
	v_readlane_b32 s31, v63, 9
	;; [unrolled: 1-line block ×10, first 2 shown]
	s_mov_b32 s32, s33
	v_readlane_b32 s4, v63, 10
	s_or_saveexec_b64 s[6:7], -1
	buffer_load_dword v63, off, s[0:3], s33 offset:352 ; 4-byte Folded Reload
	s_mov_b64 exec, s[6:7]
	s_mov_b32 s33, s4
	s_waitcnt vmcnt(0) lgkmcnt(0)
	s_setpc_b64 s[30:31]
.Lfunc_end8:
	.size	_ZN12_GLOBAL__N_17runRingI12hip_bfloat167FuncSumIS1_E11ProtoSimpleILi1ELi1ELi0ELi2ELi0ELi0EELi0ELi2ELi1EEEviiP15ncclDevWorkColl, .Lfunc_end8-_ZN12_GLOBAL__N_17runRingI12hip_bfloat167FuncSumIS1_E11ProtoSimpleILi1ELi1ELi0ELi2ELi0ELi0EELi0ELi2ELi1EEEviiP15ncclDevWorkColl
                                        ; -- End function
	.set .L_ZN12_GLOBAL__N_17runRingI12hip_bfloat167FuncSumIS1_E11ProtoSimpleILi1ELi1ELi0ELi2ELi0ELi0EELi0ELi2ELi1EEEviiP15ncclDevWorkColl.num_vgpr, max(64, .L__assert_fail.num_vgpr)
	.set .L_ZN12_GLOBAL__N_17runRingI12hip_bfloat167FuncSumIS1_E11ProtoSimpleILi1ELi1ELi0ELi2ELi0ELi0EELi0ELi2ELi1EEEviiP15ncclDevWorkColl.num_agpr, max(0, .L__assert_fail.num_agpr)
	.set .L_ZN12_GLOBAL__N_17runRingI12hip_bfloat167FuncSumIS1_E11ProtoSimpleILi1ELi1ELi0ELi2ELi0ELi0EELi0ELi2ELi1EEEviiP15ncclDevWorkColl.numbered_sgpr, max(96, .L__assert_fail.numbered_sgpr)
	.set .L_ZN12_GLOBAL__N_17runRingI12hip_bfloat167FuncSumIS1_E11ProtoSimpleILi1ELi1ELi0ELi2ELi0ELi0EELi0ELi2ELi1EEEviiP15ncclDevWorkColl.num_named_barrier, max(0, .L__assert_fail.num_named_barrier)
	.set .L_ZN12_GLOBAL__N_17runRingI12hip_bfloat167FuncSumIS1_E11ProtoSimpleILi1ELi1ELi0ELi2ELi0ELi0EELi0ELi2ELi1EEEviiP15ncclDevWorkColl.private_seg_size, 368+max(.L__assert_fail.private_seg_size)
	.set .L_ZN12_GLOBAL__N_17runRingI12hip_bfloat167FuncSumIS1_E11ProtoSimpleILi1ELi1ELi0ELi2ELi0ELi0EELi0ELi2ELi1EEEviiP15ncclDevWorkColl.uses_vcc, or(1, .L__assert_fail.uses_vcc)
	.set .L_ZN12_GLOBAL__N_17runRingI12hip_bfloat167FuncSumIS1_E11ProtoSimpleILi1ELi1ELi0ELi2ELi0ELi0EELi0ELi2ELi1EEEviiP15ncclDevWorkColl.uses_flat_scratch, or(0, .L__assert_fail.uses_flat_scratch)
	.set .L_ZN12_GLOBAL__N_17runRingI12hip_bfloat167FuncSumIS1_E11ProtoSimpleILi1ELi1ELi0ELi2ELi0ELi0EELi0ELi2ELi1EEEviiP15ncclDevWorkColl.has_dyn_sized_stack, or(0, .L__assert_fail.has_dyn_sized_stack)
	.set .L_ZN12_GLOBAL__N_17runRingI12hip_bfloat167FuncSumIS1_E11ProtoSimpleILi1ELi1ELi0ELi2ELi0ELi0EELi0ELi2ELi1EEEviiP15ncclDevWorkColl.has_recursion, or(1, .L__assert_fail.has_recursion)
	.set .L_ZN12_GLOBAL__N_17runRingI12hip_bfloat167FuncSumIS1_E11ProtoSimpleILi1ELi1ELi0ELi2ELi0ELi0EELi0ELi2ELi1EEEviiP15ncclDevWorkColl.has_indirect_call, or(0, .L__assert_fail.has_indirect_call)
	.section	.AMDGPU.csdata,"",@progbits
; Function info:
; codeLenInByte = 44664
; TotalNumSgprs: 100
; NumVgprs: 64
; ScratchSize: 432
; MemoryBound: 1
	.text
	.p2align	2                               ; -- Begin function _Z45ncclDevFunc_Reduce_RING_SIMPLE_Sum_bf16_0_1_2v
	.type	_Z45ncclDevFunc_Reduce_RING_SIMPLE_Sum_bf16_0_1_2v,@function
_Z45ncclDevFunc_Reduce_RING_SIMPLE_Sum_bf16_0_1_2v: ; @_Z45ncclDevFunc_Reduce_RING_SIMPLE_Sum_bf16_0_1_2v
; %bb.0:
	s_waitcnt vmcnt(0) expcnt(0) lgkmcnt(0)
	s_mov_b32 s4, s33
	s_mov_b32 s33, s32
	s_or_saveexec_b64 s[6:7], -1
	buffer_store_dword v43, off, s[0:3], s33 offset:16 ; 4-byte Folded Spill
	s_mov_b64 exec, s[6:7]
	v_writelane_b32 v43, s4, 16
	s_addk_i32 s32, 0x800
	buffer_store_dword v40, off, s[0:3], s33 offset:12 ; 4-byte Folded Spill
	buffer_store_dword v41, off, s[0:3], s33 offset:8 ; 4-byte Folded Spill
	;; [unrolled: 1-line block ×3, first 2 shown]
	buffer_store_dword v63, off, s[0:3], s33 ; 4-byte Folded Spill
	v_writelane_b32 v43, s34, 0
	v_writelane_b32 v43, s35, 1
	;; [unrolled: 1-line block ×16, first 2 shown]
	s_trap 2
	ds_read_b32 v0, v0
	v_mov_b32_e32 v40, v31
	s_mov_b32 s52, s12
	s_mov_b64 s[50:51], s[8:9]
	s_waitcnt lgkmcnt(0)
	v_cmp_gt_i32_e32 vcc, 1, v0
	s_cbranch_vccnz .LBB9_8
; %bb.1:
	s_mov_b32 s53, 0
	v_and_b32_e32 v41, 0x3ff, v40
	v_mov_b32_e32 v42, 6
	s_branch .LBB9_3
.LBB9_2:                                ;   in Loop: Header=BB9_3 Depth=1
	s_or_b64 exec, exec, s[54:55]
	s_trap 2
	ds_read_b32 v0, v0
	s_add_i32 s53, s53, 1
	s_waitcnt lgkmcnt(0)
	v_cmp_lt_i32_e32 vcc, s53, v0
	s_cbranch_vccz .LBB9_8
.LBB9_3:                                ; =>This Inner Loop Header: Depth=1
	s_trap 2
	ds_read_b32 v0, v0
	s_cmp_eq_u32 s53, 0
	s_cbranch_scc1 .LBB9_6
; %bb.4:                                ;   in Loop: Header=BB9_3 Depth=1
	s_trap 2
	s_waitcnt lgkmcnt(0)
	ds_read_b32 v1, v0
	s_waitcnt lgkmcnt(0)
	v_xor_b32_e32 v1, v1, v0
	v_and_b32_e32 v1, 0xff0000, v1
	v_cmp_eq_u32_e32 vcc, 0, v1
	s_cbranch_vccnz .LBB9_6
; %bb.5:                                ;   in Loop: Header=BB9_3 Depth=1
	s_waitcnt vmcnt(0)
	s_barrier
	ds_read_b32 v0, v0
.LBB9_6:                                ;   in Loop: Header=BB9_3 Depth=1
	s_waitcnt lgkmcnt(0)
	v_lshlrev_b32_sdwa v1, v42, v0 dst_sel:DWORD dst_unused:UNUSED_PAD src0_sel:DWORD src1_sel:BYTE_2
	v_cmp_lt_u32_e32 vcc, v41, v1
	s_and_saveexec_b64 s[54:55], vcc
	s_cbranch_execz .LBB9_2
; %bb.7:                                ;   in Loop: Header=BB9_3 Depth=1
	s_mov_b64 s[4:5], src_shared_base
	s_getpc_b64 s[6:7]
	s_add_u32 s6, s6, _ZN12_GLOBAL__N_17runRingI12hip_bfloat167FuncSumIS1_E11ProtoSimpleILi1ELi1ELi0ELi2ELi0ELi0EELi0ELi2ELi1EEEviiP15ncclDevWorkColl@rel32@lo+4
	s_addc_u32 s7, s7, _ZN12_GLOBAL__N_17runRingI12hip_bfloat167FuncSumIS1_E11ProtoSimpleILi1ELi1ELi0ELi2ELi0ELi0EELi0ELi2ELi1EEEviiP15ncclDevWorkColl@rel32@hi+12
	s_mov_b64 s[8:9], s[50:51]
	s_mov_b32 s12, s52
	v_mov_b32_e32 v31, v40
	v_mov_b32_e32 v0, v41
	;; [unrolled: 1-line block ×3, first 2 shown]
	s_swappc_b64 s[30:31], s[6:7]
	s_branch .LBB9_2
.LBB9_8:
	buffer_load_dword v63, off, s[0:3], s33 ; 4-byte Folded Reload
	buffer_load_dword v42, off, s[0:3], s33 offset:4 ; 4-byte Folded Reload
	buffer_load_dword v41, off, s[0:3], s33 offset:8 ; 4-byte Folded Reload
	;; [unrolled: 1-line block ×3, first 2 shown]
	v_readlane_b32 s30, v43, 14
	v_readlane_b32 s31, v43, 15
	;; [unrolled: 1-line block ×16, first 2 shown]
	s_mov_b32 s32, s33
	v_readlane_b32 s4, v43, 16
	s_or_saveexec_b64 s[6:7], -1
	buffer_load_dword v43, off, s[0:3], s33 offset:16 ; 4-byte Folded Reload
	s_mov_b64 exec, s[6:7]
	s_mov_b32 s33, s4
	s_waitcnt vmcnt(0)
	s_setpc_b64 s[30:31]
.Lfunc_end9:
	.size	_Z45ncclDevFunc_Reduce_RING_SIMPLE_Sum_bf16_0_1_2v, .Lfunc_end9-_Z45ncclDevFunc_Reduce_RING_SIMPLE_Sum_bf16_0_1_2v
                                        ; -- End function
	.set .L_Z45ncclDevFunc_Reduce_RING_SIMPLE_Sum_bf16_0_1_2v.num_vgpr, max(64, .L_ZN12_GLOBAL__N_17runRingI12hip_bfloat167FuncSumIS1_E11ProtoSimpleILi1ELi1ELi0ELi2ELi0ELi0EELi0ELi2ELi1EEEviiP15ncclDevWorkColl.num_vgpr)
	.set .L_Z45ncclDevFunc_Reduce_RING_SIMPLE_Sum_bf16_0_1_2v.num_agpr, max(0, .L_ZN12_GLOBAL__N_17runRingI12hip_bfloat167FuncSumIS1_E11ProtoSimpleILi1ELi1ELi0ELi2ELi0ELi0EELi0ELi2ELi1EEEviiP15ncclDevWorkColl.num_agpr)
	.set .L_Z45ncclDevFunc_Reduce_RING_SIMPLE_Sum_bf16_0_1_2v.numbered_sgpr, max(56, .L_ZN12_GLOBAL__N_17runRingI12hip_bfloat167FuncSumIS1_E11ProtoSimpleILi1ELi1ELi0ELi2ELi0ELi0EELi0ELi2ELi1EEEviiP15ncclDevWorkColl.numbered_sgpr)
	.set .L_Z45ncclDevFunc_Reduce_RING_SIMPLE_Sum_bf16_0_1_2v.num_named_barrier, max(0, .L_ZN12_GLOBAL__N_17runRingI12hip_bfloat167FuncSumIS1_E11ProtoSimpleILi1ELi1ELi0ELi2ELi0ELi0EELi0ELi2ELi1EEEviiP15ncclDevWorkColl.num_named_barrier)
	.set .L_Z45ncclDevFunc_Reduce_RING_SIMPLE_Sum_bf16_0_1_2v.private_seg_size, 32+max(.L_ZN12_GLOBAL__N_17runRingI12hip_bfloat167FuncSumIS1_E11ProtoSimpleILi1ELi1ELi0ELi2ELi0ELi0EELi0ELi2ELi1EEEviiP15ncclDevWorkColl.private_seg_size)
	.set .L_Z45ncclDevFunc_Reduce_RING_SIMPLE_Sum_bf16_0_1_2v.uses_vcc, or(1, .L_ZN12_GLOBAL__N_17runRingI12hip_bfloat167FuncSumIS1_E11ProtoSimpleILi1ELi1ELi0ELi2ELi0ELi0EELi0ELi2ELi1EEEviiP15ncclDevWorkColl.uses_vcc)
	.set .L_Z45ncclDevFunc_Reduce_RING_SIMPLE_Sum_bf16_0_1_2v.uses_flat_scratch, or(0, .L_ZN12_GLOBAL__N_17runRingI12hip_bfloat167FuncSumIS1_E11ProtoSimpleILi1ELi1ELi0ELi2ELi0ELi0EELi0ELi2ELi1EEEviiP15ncclDevWorkColl.uses_flat_scratch)
	.set .L_Z45ncclDevFunc_Reduce_RING_SIMPLE_Sum_bf16_0_1_2v.has_dyn_sized_stack, or(0, .L_ZN12_GLOBAL__N_17runRingI12hip_bfloat167FuncSumIS1_E11ProtoSimpleILi1ELi1ELi0ELi2ELi0ELi0EELi0ELi2ELi1EEEviiP15ncclDevWorkColl.has_dyn_sized_stack)
	.set .L_Z45ncclDevFunc_Reduce_RING_SIMPLE_Sum_bf16_0_1_2v.has_recursion, or(1, .L_ZN12_GLOBAL__N_17runRingI12hip_bfloat167FuncSumIS1_E11ProtoSimpleILi1ELi1ELi0ELi2ELi0ELi0EELi0ELi2ELi1EEEviiP15ncclDevWorkColl.has_recursion)
	.set .L_Z45ncclDevFunc_Reduce_RING_SIMPLE_Sum_bf16_0_1_2v.has_indirect_call, or(0, .L_ZN12_GLOBAL__N_17runRingI12hip_bfloat167FuncSumIS1_E11ProtoSimpleILi1ELi1ELi0ELi2ELi0ELi0EELi0ELi2ELi1EEEviiP15ncclDevWorkColl.has_indirect_call)
	.section	.AMDGPU.csdata,"",@progbits
; Function info:
; codeLenInByte = 640
; TotalNumSgprs: 100
; NumVgprs: 64
; ScratchSize: 464
; MemoryBound: 0
	.text
	.p2align	2                               ; -- Begin function _ZN12_GLOBAL__N_17runRingI12hip_bfloat167FuncSumIS1_E11ProtoSimpleILi1ELi1ELi0ELi4ELi0ELi0EELi0ELi4ELi0EEEviiP15ncclDevWorkColl
	.type	_ZN12_GLOBAL__N_17runRingI12hip_bfloat167FuncSumIS1_E11ProtoSimpleILi1ELi1ELi0ELi4ELi0ELi0EELi0ELi4ELi0EEEviiP15ncclDevWorkColl,@function
_ZN12_GLOBAL__N_17runRingI12hip_bfloat167FuncSumIS1_E11ProtoSimpleILi1ELi1ELi0ELi4ELi0ELi0EELi0ELi4ELi0EEEviiP15ncclDevWorkColl: ; @_ZN12_GLOBAL__N_17runRingI12hip_bfloat167FuncSumIS1_E11ProtoSimpleILi1ELi1ELi0ELi4ELi0ELi0EELi0ELi4ELi0EEEviiP15ncclDevWorkColl
; %bb.0:
	s_waitcnt vmcnt(0) expcnt(0) lgkmcnt(0)
	s_mov_b32 s4, s33
	s_mov_b32 s33, s32
	s_or_saveexec_b64 s[6:7], -1
	buffer_store_dword v63, off, s[0:3], s33 offset:216 ; 4-byte Folded Spill
	s_mov_b64 exec, s[6:7]
	v_writelane_b32 v63, s4, 8
	s_addk_i32 s32, 0x3800
	buffer_store_dword v40, off, s[0:3], s33 offset:56 ; 4-byte Folded Spill
	buffer_store_dword v41, off, s[0:3], s33 offset:52 ; 4-byte Folded Spill
	;; [unrolled: 1-line block ×14, first 2 shown]
	buffer_store_dword v62, off, s[0:3], s33 ; 4-byte Folded Spill
	v_writelane_b32 v63, s34, 0
	v_writelane_b32 v63, s35, 1
	;; [unrolled: 1-line block ×8, first 2 shown]
	v_mov_b32_e32 v54, v1
	v_mov_b32_e32 v42, v0
	s_trap 2
	ds_read_b64 v[0:1], v0
                                        ; implicit-def: $vgpr16_vgpr17
                                        ; implicit-def: $vgpr50_vgpr51
                                        ; implicit-def: $vgpr58_vgpr59
	s_waitcnt lgkmcnt(0)
	v_ashrrev_i32_e32 v5, 31, v1
	v_mov_b32_e32 v4, v1
	v_lshlrev_b64 v[4:5], 2, v[4:5]
	ds_read_b32 v6, v0
	v_add_co_u32_e32 v4, vcc, v0, v4
	v_addc_co_u32_e32 v1, vcc, v1, v5, vcc
	v_add_co_u32_e32 v4, vcc, -4, v4
	flat_load_ushort v15, v[2:3] offset:8
	flat_load_dwordx2 v[8:9], v[2:3]
	v_addc_co_u32_e32 v5, vcc, -1, v1, vcc
	flat_load_dword v22, v[4:5]
	s_waitcnt vmcnt(0) lgkmcnt(0)
	v_mov_b32_e32 v14, v9
	v_cmp_ne_u32_sdwa s[4:5], v6, v8 src0_sel:DWORD src1_sel:BYTE_0
	s_and_saveexec_b64 s[6:7], s[4:5]
	s_xor_b64 s[4:5], exec, s[6:7]
	s_cbranch_execz .LBB10_6
; %bb.1:
	v_not_b32_sdwa v1, v8 dst_sel:DWORD dst_unused:UNUSED_PAD src0_sel:BYTE_0
	v_cmp_ne_u32_sdwa s[6:7], v6, v8 src0_sel:DWORD src1_sel:BYTE_1
                                        ; implicit-def: $vgpr16_vgpr17
                                        ; implicit-def: $vgpr50_vgpr51
                                        ; implicit-def: $vgpr58_vgpr59
	s_and_saveexec_b64 s[10:11], s[6:7]
	s_xor_b64 s[6:7], exec, s[10:11]
	s_cbranch_execz .LBB10_3
; %bb.2:
	flat_load_dwordx4 v[7:10], v[2:3] offset:72
	flat_load_dwordx2 v[4:5], v[2:3] offset:96
	v_add_u32_e32 v1, v6, v1
	v_ashrrev_i32_e32 v6, 31, v1
	s_waitcnt vmcnt(0) lgkmcnt(0)
	v_mul_lo_u32 v6, v9, v6
	v_mad_u64_u32 v[58:59], s[10:11], v9, v1, v[7:8]
	v_mul_lo_u32 v1, v10, v1
	v_mov_b32_e32 v51, v10
	v_lshrrev_b64 v[16:17], 13, v[4:5]
	v_mov_b32_e32 v50, v9
	v_add3_u32 v59, v1, v59, v6
                                        ; implicit-def: $vgpr8
                                        ; implicit-def: $vgpr1
.LBB10_3:
	s_andn2_saveexec_b64 s[6:7], s[6:7]
	s_cbranch_execz .LBB10_5
; %bb.4:
	flat_load_dwordx4 v[9:12], v[2:3] offset:72
	flat_load_dwordx4 v[50:53], v[2:3] offset:88
	v_add_u32_sdwa v1, v8, v1 dst_sel:DWORD dst_unused:UNUSED_PAD src0_sel:BYTE_1 src1_sel:DWORD
	v_ashrrev_i32_e32 v4, 31, v1
	s_waitcnt vmcnt(0) lgkmcnt(0)
	v_mul_lo_u32 v4, v11, v4
	v_mad_u64_u32 v[58:59], s[10:11], v11, v1, v[9:10]
	v_mul_lo_u32 v1, v12, v1
	v_lshrrev_b32_e32 v16, 2, v53
	v_add3_u32 v59, v1, v59, v4
.LBB10_5:
	s_or_b64 exec, exec, s[6:7]
.LBB10_6:
	s_andn2_saveexec_b64 s[4:5], s[4:5]
	s_cbranch_execz .LBB10_8
; %bb.7:
	flat_load_dwordx2 v[4:5], v[2:3] offset:96
	flat_load_dwordx2 v[50:51], v[2:3] offset:72
	v_mov_b32_e32 v58, 0
	v_mov_b32_e32 v59, 0
	s_waitcnt vmcnt(0) lgkmcnt(0)
	v_lshlrev_b64 v[16:17], 8, v[4:5]
.LBB10_8:
	s_or_b64 exec, exec, s[4:5]
	s_trap 2
	ds_read_b64 v[4:5], v0
	s_waitcnt lgkmcnt(0)
	v_cmp_ne_u32_e32 vcc, -1, v4
	v_cndmask_b32_e64 v21, 0, 1, vcc
	v_cmp_ne_u32_e32 vcc, -1, v5
	v_addc_co_u32_e64 v1, s[4:5], 0, v21, vcc
	v_lshlrev_b32_e32 v4, 1, v1
	v_cmp_le_u32_e64 s[4:5], v4, v54
	s_and_saveexec_b64 s[6:7], s[4:5]
	s_xor_b64 s[22:23], exec, s[6:7]
	s_cbranch_execz .LBB10_1061
; %bb.9:
	flat_load_dwordx4 v[10:13], v[2:3] offset:16
	flat_load_dwordx2 v[17:18], v[2:3] offset:104
	s_trap 2
	s_load_dword s4, s[8:9], 0x0
	v_mov_b32_e32 v2, 0
	v_mov_b32_e32 v56, 4
	s_waitcnt lgkmcnt(0)
	s_cmp_lt_u32 s12, s4
	s_cselect_b32 s4, 12, 18
	s_add_u32 s4, s8, s4
	s_addc_u32 s5, s9, 0
	global_load_ushort v23, v2, s[4:5]
	ds_read_b32 v2, v0
	v_cmp_ge_i32_e64 s[4:5], v42, v21
	s_waitcnt lgkmcnt(0)
	v_readfirstlane_b32 s12, v2
	s_and_saveexec_b64 s[6:7], s[4:5]
	s_cbranch_execz .LBB10_19
; %bb.10:
	v_cmp_ge_u32_e64 s[4:5], v42, v1
                                        ; implicit-def: $vgpr56
	s_and_saveexec_b64 s[10:11], s[4:5]
	s_xor_b64 s[4:5], exec, s[10:11]
	s_cbranch_execz .LBB10_16
; %bb.11:
	v_cndmask_b32_e64 v2, 0, 1, vcc
	v_sub_u32_e32 v2, v54, v2
	v_cmp_ge_u32_e32 vcc, v42, v2
	s_and_saveexec_b64 s[10:11], vcc
	s_xor_b64 s[10:11], exec, s[10:11]
; %bb.12:
                                        ; implicit-def: $vgpr1
; %bb.13:
	s_or_saveexec_b64 s[10:11], s[10:11]
	v_mov_b32_e32 v56, 16
	s_xor_b64 exec, exec, s[10:11]
; %bb.14:
	v_sub_u32_e32 v1, v54, v1
	v_cmp_lt_i32_e32 vcc, v42, v1
	v_cndmask_b32_e64 v56, 32, 0, vcc
; %bb.15:
	s_or_b64 exec, exec, s[10:11]
.LBB10_16:
	s_andn2_saveexec_b64 s[4:5], s[4:5]
; %bb.17:
	v_mov_b32_e32 v56, 8
; %bb.18:
	s_or_b64 exec, exec, s[4:5]
.LBB10_19:
	s_or_b64 exec, exec, s[6:7]
	v_and_b32_e32 v1, 36, v56
	v_cmp_ne_u32_e32 vcc, 0, v1
	v_mov_b32_e32 v1, -1
	s_and_saveexec_b64 s[4:5], vcc
	s_cbranch_execz .LBB10_21
; %bb.20:
	s_trap 2
	ds_read_b32 v1, v0
.LBB10_21:
	s_or_b64 exec, exec, s[4:5]
	v_and_b32_e32 v2, 24, v56
	v_cmp_ne_u32_e64 s[4:5], 0, v2
	s_and_saveexec_b64 s[6:7], s[4:5]
	s_cbranch_execz .LBB10_23
; %bb.22:
	s_trap 2
	s_waitcnt lgkmcnt(0)
	ds_read_b32 v1, v0
.LBB10_23:
	s_or_b64 exec, exec, s[6:7]
	v_mov_b32_e32 v4, 0
	v_lshrrev_b64 v[2:3], 31, v[14:15]
	v_mov_b32_e32 v5, 0
	v_mov_b32_e32 v52, 0
	buffer_store_dword v4, off, s[0:3], s33 offset:60 ; 4-byte Folded Spill
	s_nop 0
	buffer_store_dword v5, off, s[0:3], s33 offset:64 ; 4-byte Folded Spill
	buffer_store_dword v6, off, s[0:3], s33 offset:68 ; 4-byte Folded Spill
	;; [unrolled: 1-line block ×3, first 2 shown]
	v_mov_b32_e32 v53, 0
	v_and_b32_e32 v3, 3, v2
	s_waitcnt lgkmcnt(0)
	v_ashrrev_i32_e32 v2, 31, v1
                                        ; implicit-def: $vgpr4_vgpr5
                                        ; kill: killed $vgpr4_vgpr5
                                        ; implicit-def: $vgpr43
                                        ; implicit-def: $vgpr46_vgpr47
                                        ; implicit-def: $vgpr4_vgpr5
                                        ; kill: killed $vgpr4_vgpr5
                                        ; implicit-def: $vgpr40_vgpr41
	s_and_saveexec_b64 s[4:5], vcc
	s_cbranch_execz .LBB10_33
; %bb.24:
	s_trap 2
	ds_read_b64 v[4:5], v0
	v_lshlrev_b64 v[6:7], 3, v[1:2]
	s_movk_i32 s6, 0xa8
	s_waitcnt lgkmcnt(0)
	v_add_co_u32_e32 v4, vcc, v4, v6
	v_addc_co_u32_e32 v5, vcc, v5, v7, vcc
	flat_load_dwordx2 v[4:5], v[4:5]
	v_and_b32_e32 v6, 0xffff, v3
	s_waitcnt vmcnt(0) lgkmcnt(0)
	v_mad_u64_u32 v[19:20], s[6:7], v6, s6, v[4:5]
	flat_load_dword v4, v[19:20] offset:640
	s_waitcnt vmcnt(0) lgkmcnt(0)
	v_cmp_eq_u32_e32 vcc, 1, v4
                                        ; implicit-def: $vgpr4_vgpr5
                                        ; kill: killed $vgpr4_vgpr5
	s_and_saveexec_b64 s[6:7], vcc
	s_cbranch_execz .LBB10_26
; %bb.25:
	flat_load_dwordx2 v[6:7], v[19:20] offset:648
	v_or_b32_e32 v56, 0x2000, v56
	s_waitcnt vmcnt(0) lgkmcnt(0)
	flat_load_dwordx2 v[4:5], v[6:7]
	s_trap 2
	s_waitcnt vmcnt(0) lgkmcnt(0)
	ds_write_b64 v0, v[4:5]
	flat_load_dwordx2 v[4:5], v[6:7] offset:8
	s_waitcnt vmcnt(0) lgkmcnt(0)
	ds_write_b64 v0, v[4:5]
	buffer_store_dword v6, off, s[0:3], s33 offset:176 ; 4-byte Folded Spill
	s_nop 0
	buffer_store_dword v7, off, s[0:3], s33 offset:180 ; 4-byte Folded Spill
	flat_load_dwordx2 v[4:5], v[6:7] offset:16
	s_waitcnt vmcnt(0) lgkmcnt(0)
	ds_write_b64 v0, v[4:5]
.LBB10_26:
	s_or_b64 exec, exec, s[6:7]
	flat_load_dwordx2 v[7:8], v[19:20] offset:608
	v_and_b32_e32 v4, 32, v56
	v_cmp_ne_u32_e32 vcc, 0, v4
                                        ; implicit-def: $vgpr40_vgpr41
	s_and_saveexec_b64 s[6:7], vcc
	s_cbranch_execz .LBB10_28
; %bb.27:
	flat_load_dwordx2 v[40:41], v[19:20] offset:560
	s_waitcnt vmcnt(0) lgkmcnt(0)
	flat_store_dwordx2 v[40:41], v[7:8]
.LBB10_28:
	s_or_b64 exec, exec, s[6:7]
	v_add_co_u32_e32 v52, vcc, 0x1f8, v19
	v_mov_b32_e32 v5, 0
	v_addc_co_u32_e32 v53, vcc, 0, v20, vcc
	v_and_b32_e32 v4, 4, v56
	v_mov_b32_e32 v6, 0
	buffer_store_dword v5, off, s[0:3], s33 offset:60 ; 4-byte Folded Spill
	s_nop 0
	buffer_store_dword v6, off, s[0:3], s33 offset:64 ; 4-byte Folded Spill
	s_waitcnt vmcnt(0) lgkmcnt(0)
	buffer_store_dword v7, off, s[0:3], s33 offset:68 ; 4-byte Folded Spill
	buffer_store_dword v8, off, s[0:3], s33 offset:72 ; 4-byte Folded Spill
	v_cmp_ne_u32_e32 vcc, 0, v4
                                        ; implicit-def: $vgpr43
                                        ; implicit-def: $vgpr46_vgpr47
                                        ; implicit-def: $vgpr4_vgpr5
                                        ; kill: killed $vgpr4_vgpr5
	s_and_saveexec_b64 s[6:7], vcc
	s_cbranch_execz .LBB10_32
; %bb.29:
	v_and_b32_e32 v4, 0x800, v56
	v_cmp_eq_u32_e32 vcc, 0, v4
	s_and_saveexec_b64 s[10:11], vcc
	s_cbranch_execz .LBB10_31
; %bb.30:
	s_trap 2
	ds_write_b64 v0, v[52:53]
.LBB10_31:
	s_or_b64 exec, exec, s[10:11]
	flat_load_dwordx2 v[40:41], v[19:20] offset:552
	s_waitcnt vmcnt(0) lgkmcnt(0)
	flat_load_dwordx2 v[46:47], v[40:41] glc
	flat_load_dword v4, v[19:20] offset:576
	buffer_load_dword v5, off, s[0:3], s33 offset:60 ; 4-byte Folded Reload
	buffer_load_dword v6, off, s[0:3], s33 offset:64 ; 4-byte Folded Reload
	;; [unrolled: 1-line block ×4, first 2 shown]
	s_waitcnt vmcnt(0)
	v_or_b32_e32 v5, 0x100, v56
	s_waitcnt lgkmcnt(0)
	v_ashrrev_i32_e32 v43, 1, v4
	v_mov_b32_e32 v9, v8
	v_mov_b32_e32 v8, v7
	flat_load_dwordx2 v[6:7], v[19:20] offset:600
	s_nop 0
	flat_load_dwordx2 v[19:20], v[19:20] offset:520
	s_waitcnt vmcnt(0) lgkmcnt(0)
	buffer_store_dword v19, off, s[0:3], s33 offset:100 ; 4-byte Folded Spill
	s_nop 0
	buffer_store_dword v20, off, s[0:3], s33 offset:104 ; 4-byte Folded Spill
	buffer_store_dword v6, off, s[0:3], s33 offset:60 ; 4-byte Folded Spill
	s_nop 0
	buffer_store_dword v7, off, s[0:3], s33 offset:64 ; 4-byte Folded Spill
	buffer_store_dword v8, off, s[0:3], s33 offset:68 ; 4-byte Folded Spill
	;; [unrolled: 1-line block ×3, first 2 shown]
	v_cmp_eq_u64_e32 vcc, 0, v[6:7]
	v_cndmask_b32_e32 v56, v5, v56, vcc
.LBB10_32:
	s_or_b64 exec, exec, s[6:7]
.LBB10_33:
	s_or_b64 exec, exec, s[4:5]
	v_and_b32_e32 v4, 24, v56
	v_cmp_ne_u32_e32 vcc, 0, v4
                                        ; implicit-def: $vgpr4_vgpr5
                                        ; kill: killed $vgpr4_vgpr5
	s_and_saveexec_b64 s[4:5], vcc
	s_cbranch_execz .LBB10_41
; %bb.34:
	s_trap 2
	ds_read_b64 v[4:5], v0
	v_lshlrev_b64 v[1:2], 3, v[1:2]
	v_and_b32_e32 v3, 0xffff, v3
	s_movk_i32 s6, 0xa8
	s_waitcnt lgkmcnt(0)
	v_add_co_u32_e32 v1, vcc, v4, v1
	v_addc_co_u32_e32 v2, vcc, v5, v2, vcc
	flat_load_dwordx2 v[1:2], v[1:2]
	s_waitcnt vmcnt(0) lgkmcnt(0)
	v_mad_u64_u32 v[52:53], s[6:7], v3, s6, v[1:2]
	v_or_b32_e32 v1, 0x100, v56
	flat_load_dwordx4 v[2:5], v[52:53] offset:96
	s_waitcnt vmcnt(0) lgkmcnt(0)
	buffer_store_dword v2, off, s[0:3], s33 offset:60 ; 4-byte Folded Spill
	s_nop 0
	buffer_store_dword v3, off, s[0:3], s33 offset:64 ; 4-byte Folded Spill
	buffer_store_dword v4, off, s[0:3], s33 offset:68 ; 4-byte Folded Spill
	;; [unrolled: 1-line block ×3, first 2 shown]
	v_cmp_eq_u64_e32 vcc, 0, v[2:3]
	v_cndmask_b32_e32 v56, v1, v56, vcc
	v_and_b32_e32 v1, 16, v56
	v_cmp_ne_u32_e32 vcc, 0, v1
                                        ; implicit-def: $vgpr1_vgpr2
                                        ; kill: killed $vgpr1_vgpr2
	s_and_saveexec_b64 s[6:7], vcc
	s_cbranch_execz .LBB10_36
; %bb.35:
	flat_load_dwordx2 v[40:41], v[52:53] offset:48
	flat_load_dwordx2 v[1:2], v[52:53] offset:120
	s_waitcnt vmcnt(0) lgkmcnt(0)
	buffer_store_dword v1, off, s[0:3], s33 offset:108 ; 4-byte Folded Spill
	s_nop 0
	buffer_store_dword v2, off, s[0:3], s33 offset:112 ; 4-byte Folded Spill
	flat_load_dwordx2 v[1:2], v[52:53] offset:16
	s_waitcnt vmcnt(0) lgkmcnt(0)
	buffer_store_dword v1, off, s[0:3], s33 offset:100 ; 4-byte Folded Spill
	s_nop 0
	buffer_store_dword v2, off, s[0:3], s33 offset:104 ; 4-byte Folded Spill
.LBB10_36:
	s_or_b64 exec, exec, s[6:7]
	v_and_b32_e32 v1, 8, v56
	v_cmp_ne_u32_e32 vcc, 0, v1
	s_and_saveexec_b64 s[6:7], vcc
	s_cbranch_execz .LBB10_40
; %bb.37:
	v_and_b32_e32 v1, 0x800, v56
	v_cmp_eq_u32_e32 vcc, 0, v1
	s_and_saveexec_b64 s[10:11], vcc
	s_cbranch_execz .LBB10_39
; %bb.38:
	s_trap 2
	ds_write_b64 v0, v[52:53]
.LBB10_39:
	s_or_b64 exec, exec, s[10:11]
	flat_load_dwordx2 v[40:41], v[52:53] offset:56
	s_waitcnt vmcnt(0) lgkmcnt(0)
	flat_load_dwordx2 v[46:47], v[40:41] glc
	flat_load_dword v1, v[52:53] offset:72
	flat_load_dwordx2 v[2:3], v[52:53] offset:16
	s_waitcnt vmcnt(0) lgkmcnt(0)
	buffer_store_dword v2, off, s[0:3], s33 offset:100 ; 4-byte Folded Spill
	s_nop 0
	buffer_store_dword v3, off, s[0:3], s33 offset:104 ; 4-byte Folded Spill
	v_ashrrev_i32_e32 v43, 1, v1
.LBB10_40:
	s_or_b64 exec, exec, s[6:7]
.LBB10_41:
	s_or_b64 exec, exec, s[4:5]
	v_cmp_eq_u32_e64 s[4:5], 0, v42
	s_and_saveexec_b64 s[6:7], s[4:5]
	s_cbranch_execz .LBB10_43
; %bb.42:
	s_waitcnt vmcnt(0)
	v_mov_b32_e32 v1, v12
	v_mov_b32_e32 v2, v13
	;; [unrolled: 1-line block ×4, first 2 shown]
	ds_write2_b64 v0, v[1:2], v[3:4] offset1:1
	v_mov_b32_e32 v1, 0
	v_mov_b32_e32 v2, v1
	s_trap 2
	ds_write_b64 v0, v[1:2]
	ds_write_b64 v0, v[17:18]
.LBB10_43:
	s_or_b64 exec, exec, s[6:7]
	s_ashr_i32 s6, s12, 31
	s_lshr_b32 s6, s6, 29
	s_add_i32 s12, s12, s6
	v_bfe_u32 v1, v14, 1, 30
	v_and_b32_e32 v60, 0x1fffff00, v16
	v_mov_b32_e32 v61, 0
	s_ashr_i32 s30, s12, 4
	v_cmp_ne_u32_e32 vcc, v22, v1
                                        ; implicit-def: $vgpr44_vgpr45
	s_and_saveexec_b64 s[6:7], vcc
	s_xor_b64 s[24:25], exec, s[6:7]
	s_cbranch_execz .LBB10_853
; %bb.44:
	v_cmp_ne_u32_e32 vcc, v0, v1
                                        ; implicit-def: $vgpr44_vgpr45
	s_and_saveexec_b64 s[6:7], vcc
	s_xor_b64 s[26:27], exec, s[6:7]
	s_cbranch_execz .LBB10_454
; %bb.45:
	v_mov_b32_e32 v44, 0
	v_cmp_ne_u64_e32 vcc, 0, v[50:51]
	v_mov_b32_e32 v45, 0
	s_and_saveexec_b64 s[28:29], vcc
	s_cbranch_execz .LBB10_453
; %bb.46:
	v_ashrrev_i32_e32 v0, 31, v43
	buffer_store_dword v52, off, s[0:3], s33 offset:148 ; 4-byte Folded Spill
	s_nop 0
	buffer_store_dword v53, off, s[0:3], s33 offset:152 ; 4-byte Folded Spill
	s_trap 2
	buffer_store_dword v0, off, s[0:3], s33 offset:144 ; 4-byte Folded Spill
	v_and_b32_e32 v0, 63, v31
	v_cmp_eq_u32_e64 s[12:13], 0, v0
	v_ashrrev_i32_e32 v0, 31, v42
	v_lshrrev_b32_e32 v0, 26, v0
	v_add_u32_e32 v0, v42, v0
	v_and_b32_e32 v1, 0xffffffc0, v0
	v_ashrrev_i32_e32 v32, 6, v0
	v_sub_u32_e32 v1, v42, v1
	v_lshlrev_b32_e32 v0, 12, v32
	v_lshl_add_u32 v0, v1, 4, v0
	v_lshrrev_b32_e32 v2, 6, v54
	buffer_store_dword v0, off, s[0:3], s33 offset:204 ; 4-byte Folded Spill
	v_ashrrev_i32_e32 v0, 31, v0
	buffer_store_dword v0, off, s[0:3], s33 offset:208 ; 4-byte Folded Spill
	v_lshlrev_b32_e32 v0, 10, v2
	s_waitcnt vmcnt(0)
	buffer_store_dword v23, off, s[0:3], s33 offset:160 ; 4-byte Folded Spill
	buffer_store_dword v31, off, s[0:3], s33 offset:156 ; 4-byte Folded Spill
	;; [unrolled: 1-line block ×6, first 2 shown]
	v_lshlrev_b32_e32 v0, 1, v54
	v_cmp_le_i32_e64 s[14:15], v1, v21
	v_cmp_lt_i32_e64 s[16:17], v1, v21
	v_and_b32_e32 v30, 0x7f80, v0
	buffer_load_dword v0, off, s[0:3], s33 offset:108 ; 4-byte Folded Reload
	buffer_load_dword v1, off, s[0:3], s33 offset:112 ; 4-byte Folded Reload
	s_lshr_b32 s6, s30, 27
	s_add_i32 s6, s30, s6
	s_ashr_i32 s31, s6, 5
	v_cmp_ge_i32_e64 s[6:7], v42, v54
	v_cmp_eq_u32_e32 vcc, 64, v54
	v_mov_b32_e32 v6, v60
	v_lshlrev_b32_e32 v31, 12, v2
	v_mov_b32_e32 v57, v2
	v_lshlrev_b32_e32 v42, 11, v2
	v_mov_b32_e32 v2, 0
	v_mov_b32_e32 v44, 0
	v_cmp_ne_u32_e64 s[10:11], 64, v54
	v_cmp_ne_u32_sdwa s[40:41], v54, v23 src0_sel:DWORD src1_sel:WORD_0
	v_mov_b32_e32 v7, v61
	v_mov_b32_e32 v60, 0
	s_mov_b64 s[42:43], 0
	v_mov_b32_e32 v3, 0
	v_mov_b32_e32 v45, 0
	s_movk_i32 s34, 0x108
	s_xor_b64 s[44:45], vcc, -1
	s_mov_b32 s35, 0x7f800000
	s_movk_i32 s36, 0x7fff
	s_mov_b32 s37, 0xffff0000
	s_movk_i32 s38, 0xfc00
	v_mov_b32_e32 v33, 0xc8
	v_mov_b32_e32 v34, 0x90
	buffer_store_dword v58, off, s[0:3], s33 offset:120 ; 4-byte Folded Spill
	s_nop 0
	buffer_store_dword v59, off, s[0:3], s33 offset:124 ; 4-byte Folded Spill
	buffer_store_dword v43, off, s[0:3], s33 offset:116 ; 4-byte Folded Spill
	;; [unrolled: 1-line block ×4, first 2 shown]
	s_nop 0
	buffer_store_dword v51, off, s[0:3], s33 offset:80 ; 4-byte Folded Spill
	buffer_store_dword v52, off, s[0:3], s33 offset:84 ; 4-byte Folded Spill
	;; [unrolled: 1-line block ×4, first 2 shown]
	s_nop 0
	buffer_store_dword v7, off, s[0:3], s33 offset:96 ; 4-byte Folded Spill
	s_waitcnt vmcnt(10)
	v_cmp_eq_u64_e64 s[18:19], 0, v[0:1]
	s_branch .LBB10_49
.LBB10_47:                              ;   in Loop: Header=BB10_49 Depth=1
	s_or_b64 exec, exec, s[20:21]
.LBB10_48:                              ;   in Loop: Header=BB10_49 Depth=1
	s_or_b64 exec, exec, s[56:57]
	buffer_load_dword v6, off, s[0:3], s33 offset:92 ; 4-byte Folded Reload
	buffer_load_dword v7, off, s[0:3], s33 offset:96 ; 4-byte Folded Reload
	;; [unrolled: 1-line block ×6, first 2 shown]
	s_waitcnt vmcnt(0)
	v_add_co_u32_e32 v2, vcc, v2, v6
	v_addc_co_u32_e32 v3, vcc, 0, v3, vcc
	v_cmp_ge_u64_e32 vcc, v[2:3], v[50:51]
	s_or_b64 s[42:43], vcc, s[42:43]
	s_andn2_b64 exec, exec, s[42:43]
	s_cbranch_execz .LBB10_452
.LBB10_49:                              ; =>This Loop Header: Depth=1
                                        ;     Child Loop BB10_58 Depth 2
                                        ;     Child Loop BB10_86 Depth 2
	;; [unrolled: 1-line block ×10, first 2 shown]
	v_sub_co_u32_e32 v0, vcc, v50, v2
	v_subb_co_u32_e32 v1, vcc, v51, v3, vcc
	v_cmp_lt_u64_e32 vcc, v[6:7], v[0:1]
	v_cndmask_b32_e64 v55, v1, 0, vcc
	v_cndmask_b32_e32 v54, v0, v6, vcc
	v_cmp_eq_u64_e32 vcc, 0, v[54:55]
	v_add_u32_e32 v0, 15, v54
	v_and_b32_e32 v0, 0x3ffffff0, v0
	s_or_b64 s[46:47], s[6:7], vcc
	v_max_i32_e32 v55, s31, v0
	s_xor_b64 s[20:21], s[46:47], -1
	v_mov_b32_e32 v0, 0
	s_and_saveexec_b64 s[56:57], s[20:21]
	s_cbranch_execz .LBB10_400
; %bb.50:                               ;   in Loop: Header=BB10_49 Depth=1
	s_and_saveexec_b64 s[20:21], s[4:5]
	s_cbranch_execz .LBB10_52
; %bb.51:                               ;   in Loop: Header=BB10_49 Depth=1
	s_trap 2
	ds_read_b64 v[0:1], v0
	v_lshlrev_b64 v[4:5], 1, v[58:59]
	v_mov_b32_e32 v61, v60
	s_waitcnt lgkmcnt(0)
	v_add_co_u32_e32 v4, vcc, v0, v4
	v_addc_co_u32_e32 v5, vcc, v1, v5, vcc
	v_lshlrev_b64 v[0:1], 1, v[2:3]
	v_add_co_u32_e32 v0, vcc, v4, v0
	v_addc_co_u32_e32 v1, vcc, v5, v1, vcc
	ds_write_b64 v0, v[0:1]
	ds_write_b64 v0, v[60:61]
.LBB10_52:                              ;   in Loop: Header=BB10_49 Depth=1
	s_or_b64 exec, exec, s[20:21]
	v_and_b32_e32 v0, 12, v56
	v_min_u32_e32 v55, v55, v54
	v_cmp_ne_u32_e32 vcc, 0, v0
	s_and_saveexec_b64 s[58:59], vcc
	s_cbranch_execz .LBB10_78
; %bb.53:                               ;   in Loop: Header=BB10_49 Depth=1
	buffer_load_dword v6, off, s[0:3], s33 offset:60 ; 4-byte Folded Reload
	buffer_load_dword v7, off, s[0:3], s33 offset:64 ; 4-byte Folded Reload
	;; [unrolled: 1-line block ×4, first 2 shown]
	v_and_b32_e32 v12, 8, v56
	v_add_co_u32_e32 v4, vcc, v46, v12
	v_addc_co_u32_e32 v5, vcc, 0, v47, vcc
	s_waitcnt vmcnt(0)
	v_add_co_u32_e32 v0, vcc, 1, v8
	s_waitcnt vmcnt(0)
	v_addc_co_u32_e32 v1, vcc, 0, v9, vcc
	v_cmp_lt_u64_e32 vcc, v[4:5], v[0:1]
	s_and_saveexec_b64 s[60:61], vcc
	s_cbranch_execz .LBB10_65
; %bb.54:                               ;   in Loop: Header=BB10_49 Depth=1
	v_and_b32_e32 v4, 64, v56
	s_mov_b32 s39, 0
	v_cmp_eq_u32_e32 vcc, 0, v4
	s_mov_b64 s[62:63], 0
                                        ; implicit-def: $sgpr72_sgpr73
                                        ; implicit-def: $sgpr74_sgpr75
                                        ; implicit-def: $sgpr76_sgpr77
	s_branch .LBB10_58
.LBB10_55:                              ;   in Loop: Header=BB10_58 Depth=2
	s_waitcnt vmcnt(0) lgkmcnt(0)
	v_add_co_u32_e64 v4, s[20:21], v46, v12
	v_addc_co_u32_e64 v5, s[20:21], 0, v47, s[20:21]
	v_cmp_ge_u64_e64 s[20:21], v[4:5], v[0:1]
	s_or_b64 s[90:91], s[90:91], exec
	s_orn2_b64 s[88:89], s[20:21], exec
.LBB10_56:                              ;   in Loop: Header=BB10_58 Depth=2
	s_or_b64 exec, exec, s[94:95]
	s_andn2_b64 s[20:21], s[76:77], exec
	s_and_b64 s[76:77], s[90:91], exec
	s_or_b64 s[76:77], s[20:21], s[76:77]
	s_andn2_b64 s[20:21], s[74:75], exec
	s_and_b64 s[74:75], s[88:89], exec
	s_or_b64 s[74:75], s[20:21], s[74:75]
.LBB10_57:                              ;   in Loop: Header=BB10_58 Depth=2
	s_or_b64 exec, exec, s[78:79]
	s_and_b64 s[20:21], exec, s[74:75]
	s_or_b64 s[62:63], s[20:21], s[62:63]
	s_andn2_b64 s[20:21], s[72:73], exec
	s_and_b64 s[72:73], s[76:77], exec
	s_or_b64 s[72:73], s[20:21], s[72:73]
	s_andn2_b64 exec, exec, s[62:63]
	s_cbranch_execz .LBB10_62
.LBB10_58:                              ;   Parent Loop BB10_49 Depth=1
                                        ; =>  This Inner Loop Header: Depth=2
	s_sleep 1
	s_waitcnt vmcnt(0) lgkmcnt(0)
	flat_load_dwordx2 v[46:47], v[40:41] glc
	s_or_b64 s[76:77], s[76:77], exec
	s_or_b64 s[74:75], s[74:75], exec
                                        ; implicit-def: $vgpr9
	s_and_saveexec_b64 s[78:79], vcc
	s_cbranch_execz .LBB10_57
; %bb.59:                               ;   in Loop: Header=BB10_58 Depth=2
	s_cmpk_lt_i32 s39, 0x270f
	s_cselect_b64 s[92:93], -1, 0
	s_cmpk_gt_i32 s39, 0x270e
	s_mov_b64 s[88:89], -1
	s_cbranch_scc0 .LBB10_61
; %bb.60:                               ;   in Loop: Header=BB10_58 Depth=2
	s_trap 2
	ds_read_b64 v[4:5], v0
	s_andn2_b64 s[92:93], s[92:93], exec
	s_mov_b32 s39, 0
	s_mov_b64 s[90:91], 0
	s_waitcnt vmcnt(0) lgkmcnt(0)
	flat_load_dword v9, v[4:5] glc
	s_waitcnt vmcnt(0) lgkmcnt(0)
	buffer_wbinvl1_vol
	v_cmp_eq_u32_e64 s[20:21], 0, v9
	s_and_b64 s[20:21], s[20:21], exec
	s_or_b64 s[92:93], s[92:93], s[20:21]
	s_and_saveexec_b64 s[94:95], s[92:93]
	s_cbranch_execz .LBB10_56
	s_branch .LBB10_55
.LBB10_61:                              ;   in Loop: Header=BB10_58 Depth=2
	s_add_i32 s39, s39, 1
	s_mov_b64 s[90:91], -1
                                        ; implicit-def: $vgpr9
	s_and_saveexec_b64 s[94:95], s[92:93]
	s_cbranch_execz .LBB10_56
	s_branch .LBB10_55
.LBB10_62:                              ;   in Loop: Header=BB10_49 Depth=1
	s_or_b64 exec, exec, s[62:63]
	s_xor_b64 s[20:21], s[72:73], -1
	s_and_saveexec_b64 s[62:63], s[20:21]
	s_xor_b64 s[20:21], exec, s[62:63]
	s_cbranch_execz .LBB10_64
; %bb.63:                               ;   in Loop: Header=BB10_49 Depth=1
	v_or_b32_e32 v56, 64, v56
	s_waitcnt lgkmcnt(0)
	ds_write_b32 v0, v9
	s_trap 2
.LBB10_64:                              ;   in Loop: Header=BB10_49 Depth=1
	s_or_b64 exec, exec, s[20:21]
.LBB10_65:                              ;   in Loop: Header=BB10_49 Depth=1
	s_or_b64 exec, exec, s[60:61]
	v_and_b32_e32 v4, 0x108, v56
	;;#ASMSTART
	s_wakeup
	;;#ASMEND
	v_cmp_ne_u32_e32 vcc, s34, v4
	buffer_load_dword v4, off, s[0:3], s33 offset:60 ; 4-byte Folded Reload
	buffer_load_dword v5, off, s[0:3], s33 offset:64 ; 4-byte Folded Reload
	buffer_load_dword v6, off, s[0:3], s33 offset:68 ; 4-byte Folded Reload
	buffer_load_dword v7, off, s[0:3], s33 offset:72 ; 4-byte Folded Reload
	s_waitcnt vmcnt(0)
	v_and_b32_e32 v13, 7, v6
	s_and_saveexec_b64 s[20:21], vcc
	s_xor_b64 s[20:21], exec, s[20:21]
                                        ; implicit-def: $vgpr14
; %bb.66:                               ;   in Loop: Header=BB10_49 Depth=1
	v_mov_b32_e32 v14, v60
; %bb.67:                               ;   in Loop: Header=BB10_49 Depth=1
	s_andn2_saveexec_b64 s[20:21], s[20:21]
	s_cbranch_execz .LBB10_69
; %bb.68:                               ;   in Loop: Header=BB10_49 Depth=1
	buffer_load_dword v4, off, s[0:3], s33 offset:60 ; 4-byte Folded Reload
	buffer_load_dword v5, off, s[0:3], s33 offset:64 ; 4-byte Folded Reload
	;; [unrolled: 1-line block ×4, first 2 shown]
	v_mov_b32_e32 v14, v60
	s_waitcnt vmcnt(0)
	v_lshlrev_b32_e32 v6, 1, v55
	v_mov_b32_e32 v7, v60
	v_mad_u64_u32 v[4:5], s[60:61], v13, 24, v[4:5]
	flat_store_dwordx2 v[4:5], v[6:7] offset:8
.LBB10_69:                              ;   in Loop: Header=BB10_49 Depth=1
	s_or_b64 exec, exec, s[20:21]
	v_and_b32_e32 v4, 0x100, v56
	v_cmp_ne_u32_e32 vcc, 0, v4
	s_mov_b64 s[20:21], -1
                                        ; implicit-def: $vgpr8_vgpr9
	s_and_saveexec_b64 s[60:61], vcc
	s_cbranch_execz .LBB10_73
; %bb.70:                               ;   in Loop: Header=BB10_49 Depth=1
	buffer_load_dword v4, off, s[0:3], s33 offset:60 ; 4-byte Folded Reload
	buffer_load_dword v5, off, s[0:3], s33 offset:64 ; 4-byte Folded Reload
	;; [unrolled: 1-line block ×4, first 2 shown]
                                        ; implicit-def: $vgpr8_vgpr9
	s_waitcnt vmcnt(0)
	v_mad_u64_u32 v[10:11], s[20:21], v13, 24, v[4:5]
	v_mov_b32_e32 v4, v11
	v_mad_u64_u32 v[4:5], s[20:21], v14, 24, v[4:5]
	v_mov_b32_e32 v11, v4
	flat_load_dword v4, v[10:11]
	s_waitcnt vmcnt(0) lgkmcnt(0)
	v_cmp_ne_u32_e32 vcc, 1, v4
	v_cmp_eq_u32_e64 s[20:21], 1, v4
	s_and_saveexec_b64 s[62:63], s[20:21]
	s_cbranch_execz .LBB10_72
; %bb.71:                               ;   in Loop: Header=BB10_49 Depth=1
	flat_load_dword v4, v[10:11] offset:4 glc
	s_waitcnt vmcnt(0) lgkmcnt(0)
	v_ashrrev_i32_e32 v5, 31, v4
	v_lshrrev_b64 v[8:9], 1, v[4:5]
.LBB10_72:                              ;   in Loop: Header=BB10_49 Depth=1
	s_or_b64 exec, exec, s[62:63]
	s_orn2_b64 s[20:21], vcc, exec
.LBB10_73:                              ;   in Loop: Header=BB10_49 Depth=1
	s_or_b64 exec, exec, s[60:61]
	s_and_saveexec_b64 s[60:61], s[20:21]
	s_cbranch_execz .LBB10_75
; %bb.74:                               ;   in Loop: Header=BB10_49 Depth=1
	buffer_load_dword v5, off, s[0:3], s33 offset:144 ; 4-byte Folded Reload
	v_mul_lo_u32 v4, v14, v43
	v_mad_u64_u32 v[8:9], s[20:21], v13, v43, 0
	s_waitcnt vmcnt(0)
	v_mul_lo_u32 v5, v13, v5
	v_add3_u32 v9, v9, v5, v4
.LBB10_75:                              ;   in Loop: Header=BB10_49 Depth=1
	s_or_b64 exec, exec, s[60:61]
	v_lshlrev_b64 v[4:5], 1, v[8:9]
	buffer_load_dword v7, off, s[0:3], s33 offset:100 ; 4-byte Folded Reload
	buffer_load_dword v8, off, s[0:3], s33 offset:104 ; 4-byte Folded Reload
	v_cmp_eq_u32_e32 vcc, 0, v12
	v_cndmask_b32_e32 v6, v33, v34, vcc
	v_add_u32_e32 v6, v0, v6
	s_waitcnt vmcnt(0)
	v_add_co_u32_e32 v4, vcc, v7, v4
	v_addc_co_u32_e32 v5, vcc, v8, v5, vcc
	ds_write_b64 v6, v[4:5] offset:584
	v_and_b32_e32 v4, 0x2000, v56
	v_cmp_ne_u32_e32 vcc, 0, v4
	s_and_saveexec_b64 s[20:21], vcc
	s_cbranch_execz .LBB10_77
; %bb.76:                               ;   in Loop: Header=BB10_49 Depth=1
	ds_read_b64 v[4:5], v0 offset:872
	s_waitcnt lgkmcnt(0)
	v_add_co_u32_e32 v4, vcc, 1, v4
	v_addc_co_u32_e32 v5, vcc, 0, v5, vcc
	ds_write_b64 v0, v[4:5] offset:872
.LBB10_77:                              ;   in Loop: Header=BB10_49 Depth=1
	s_or_b64 exec, exec, s[20:21]
	buffer_load_dword v4, off, s[0:3], s33 offset:60 ; 4-byte Folded Reload
	buffer_load_dword v5, off, s[0:3], s33 offset:64 ; 4-byte Folded Reload
	;; [unrolled: 1-line block ×4, first 2 shown]
	s_waitcnt vmcnt(0)
	v_mov_b32_e32 v7, v1
	v_mov_b32_e32 v6, v0
	buffer_store_dword v4, off, s[0:3], s33 offset:60 ; 4-byte Folded Spill
	s_nop 0
	buffer_store_dword v5, off, s[0:3], s33 offset:64 ; 4-byte Folded Spill
	buffer_store_dword v6, off, s[0:3], s33 offset:68 ; 4-byte Folded Spill
	;; [unrolled: 1-line block ×3, first 2 shown]
.LBB10_78:                              ;   in Loop: Header=BB10_49 Depth=1
	s_or_b64 exec, exec, s[58:59]
	s_and_saveexec_b64 s[20:21], s[10:11]
	s_cbranch_execz .LBB10_97
; %bb.79:                               ;   in Loop: Header=BB10_49 Depth=1
	s_and_saveexec_b64 s[58:59], s[40:41]
	s_xor_b64 s[58:59], exec, s[58:59]
	s_cbranch_execz .LBB10_94
; %bb.80:                               ;   in Loop: Header=BB10_49 Depth=1
	s_and_saveexec_b64 s[60:61], s[12:13]
	s_cbranch_execz .LBB10_93
; %bb.81:                               ;   in Loop: Header=BB10_49 Depth=1
	s_mov_b64 s[72:73], exec
	v_mbcnt_lo_u32_b32 v0, s72, 0
	v_mbcnt_hi_u32_b32 v0, s73, v0
	v_cmp_eq_u32_e32 vcc, 0, v0
	s_waitcnt vmcnt(0) lgkmcnt(0)
	buffer_wbinvl1_vol
	s_and_saveexec_b64 s[62:63], vcc
	s_cbranch_execz .LBB10_83
; %bb.82:                               ;   in Loop: Header=BB10_49 Depth=1
	s_bcnt1_i32_b64 s72, s[72:73]
	v_mov_b32_e32 v0, s72
	v_mov_b32_e32 v1, v60
	ds_add_u64 v0, v[0:1]
	s_trap 2
.LBB10_83:                              ;   in Loop: Header=BB10_49 Depth=1
	s_or_b64 exec, exec, s[62:63]
	s_trap 2
	ds_read_b64 v[0:1], v0
	s_waitcnt lgkmcnt(0)
	v_mov_b32_e32 v4, v44
	v_mov_b32_e32 v5, v45
	v_add_co_u32_e32 v4, vcc, v4, v57
	v_addc_co_u32_e32 v5, vcc, 0, v5, vcc
	v_mov_b32_e32 v45, v5
	v_cmp_lt_u64_e32 vcc, v[0:1], v[4:5]
	v_mov_b32_e32 v44, v4
	s_and_saveexec_b64 s[62:63], vcc
	s_cbranch_execz .LBB10_92
; %bb.84:                               ;   in Loop: Header=BB10_49 Depth=1
	s_mov_b32 s92, 0
	s_mov_b64 s[72:73], 0
                                        ; implicit-def: $sgpr74_sgpr75
                                        ; implicit-def: $sgpr76_sgpr77
	s_branch .LBB10_86
.LBB10_85:                              ;   in Loop: Header=BB10_86 Depth=2
	s_or_b64 exec, exec, s[88:89]
	s_and_b64 s[78:79], exec, s[90:91]
	s_or_b64 s[72:73], s[78:79], s[72:73]
	s_andn2_b64 s[74:75], s[74:75], exec
	s_and_b64 s[78:79], s[76:77], exec
	s_or_b64 s[74:75], s[74:75], s[78:79]
	s_andn2_b64 exec, exec, s[72:73]
	s_cbranch_execz .LBB10_90
.LBB10_86:                              ;   Parent Loop BB10_49 Depth=1
                                        ; =>  This Inner Loop Header: Depth=2
	s_add_i32 s92, s92, 1
	s_cmpk_lg_i32 s92, 0x2710
	s_cselect_b64 s[78:79], -1, 0
	s_and_b64 vcc, exec, s[78:79]
	s_cbranch_vccz .LBB10_88
; %bb.87:                               ;   in Loop: Header=BB10_86 Depth=2
	s_mov_b64 s[90:91], -1
	s_or_b64 s[76:77], s[76:77], exec
	s_and_saveexec_b64 s[88:89], s[78:79]
	s_cbranch_execz .LBB10_85
	s_branch .LBB10_89
.LBB10_88:                              ;   in Loop: Header=BB10_86 Depth=2
	s_trap 2
	ds_read_b64 v[0:1], v0
	s_andn2_b64 s[78:79], s[78:79], exec
	s_mov_b32 s92, 0
	s_waitcnt lgkmcnt(0)
	flat_load_dword v0, v[0:1] glc
	s_waitcnt vmcnt(0) lgkmcnt(0)
	buffer_wbinvl1_vol
	v_cmp_eq_u32_e32 vcc, 0, v0
	s_and_b64 s[88:89], vcc, exec
	s_or_b64 s[78:79], s[78:79], s[88:89]
	s_mov_b64 s[90:91], -1
	s_or_b64 s[76:77], s[76:77], exec
	s_and_saveexec_b64 s[88:89], s[78:79]
	s_cbranch_execz .LBB10_85
.LBB10_89:                              ;   in Loop: Header=BB10_86 Depth=2
	s_sleep 1
	s_trap 2
	ds_read_b64 v[0:1], v0
	s_waitcnt lgkmcnt(0)
	s_andn2_b64 s[76:77], s[76:77], exec
	v_cmp_ge_u64_e32 vcc, v[0:1], v[44:45]
	s_orn2_b64 s[90:91], vcc, exec
	s_branch .LBB10_85
.LBB10_90:                              ;   in Loop: Header=BB10_49 Depth=1
	s_or_b64 exec, exec, s[72:73]
	s_and_saveexec_b64 s[72:73], s[74:75]
	s_xor_b64 s[72:73], exec, s[72:73]
	s_cbranch_execz .LBB10_92
; %bb.91:                               ;   in Loop: Header=BB10_49 Depth=1
	v_mov_b32_e32 v0, 1
	ds_write_b32 v0, v0
	s_trap 2
.LBB10_92:                              ;   in Loop: Header=BB10_49 Depth=1
	s_or_b64 exec, exec, s[62:63]
	;;#ASMSTART
	s_wakeup
	;;#ASMEND
.LBB10_93:                              ;   in Loop: Header=BB10_49 Depth=1
	s_or_b64 exec, exec, s[60:61]
.LBB10_94:                              ;   in Loop: Header=BB10_49 Depth=1
	s_andn2_saveexec_b64 s[58:59], s[58:59]
	s_cbranch_execz .LBB10_96
; %bb.95:                               ;   in Loop: Header=BB10_49 Depth=1
	s_waitcnt vmcnt(0) lgkmcnt(0)
	buffer_wbinvl1_vol
	s_barrier
.LBB10_96:                              ;   in Loop: Header=BB10_49 Depth=1
	s_or_b64 exec, exec, s[58:59]
.LBB10_97:                              ;   in Loop: Header=BB10_49 Depth=1
	s_or_b64 exec, exec, s[20:21]
	s_trap 2
	ds_read_b32 v0, v0
	v_and_b32_e32 v1, 0x4000, v56
	v_cmp_ne_u32_e32 vcc, 0, v1
	s_and_b64 s[58:59], s[44:45], vcc
	s_and_saveexec_b64 s[20:21], s[58:59]
	s_cbranch_execz .LBB10_116
; %bb.98:                               ;   in Loop: Header=BB10_49 Depth=1
	s_and_saveexec_b64 s[58:59], s[40:41]
	s_xor_b64 s[58:59], exec, s[58:59]
	s_cbranch_execz .LBB10_113
; %bb.99:                               ;   in Loop: Header=BB10_49 Depth=1
	s_and_saveexec_b64 s[60:61], s[12:13]
	s_cbranch_execz .LBB10_112
; %bb.100:                              ;   in Loop: Header=BB10_49 Depth=1
	s_mov_b64 s[72:73], exec
	v_mbcnt_lo_u32_b32 v1, s72, 0
	v_mbcnt_hi_u32_b32 v1, s73, v1
	v_cmp_eq_u32_e32 vcc, 0, v1
	s_waitcnt vmcnt(0) lgkmcnt(0)
	buffer_wbinvl1_vol
	s_and_saveexec_b64 s[62:63], vcc
	s_cbranch_execz .LBB10_102
; %bb.101:                              ;   in Loop: Header=BB10_49 Depth=1
	s_bcnt1_i32_b64 s72, s[72:73]
	v_mov_b32_e32 v4, s72
	v_mov_b32_e32 v5, v60
	ds_add_u64 v0, v[4:5]
	s_trap 2
.LBB10_102:                             ;   in Loop: Header=BB10_49 Depth=1
	s_or_b64 exec, exec, s[62:63]
	s_trap 2
	ds_read_b64 v[4:5], v0
	s_waitcnt lgkmcnt(0)
	v_mov_b32_e32 v6, v44
	v_mov_b32_e32 v7, v45
	v_add_co_u32_e32 v6, vcc, v6, v57
	v_addc_co_u32_e32 v7, vcc, 0, v7, vcc
	v_mov_b32_e32 v45, v7
	v_cmp_lt_u64_e32 vcc, v[4:5], v[6:7]
	v_mov_b32_e32 v44, v6
	s_and_saveexec_b64 s[62:63], vcc
	s_cbranch_execz .LBB10_111
; %bb.103:                              ;   in Loop: Header=BB10_49 Depth=1
	s_mov_b32 s92, 0
	s_mov_b64 s[72:73], 0
                                        ; implicit-def: $sgpr74_sgpr75
                                        ; implicit-def: $sgpr76_sgpr77
	s_branch .LBB10_105
.LBB10_104:                             ;   in Loop: Header=BB10_105 Depth=2
	s_or_b64 exec, exec, s[88:89]
	s_and_b64 s[78:79], exec, s[90:91]
	s_or_b64 s[72:73], s[78:79], s[72:73]
	s_andn2_b64 s[74:75], s[74:75], exec
	s_and_b64 s[78:79], s[76:77], exec
	s_or_b64 s[74:75], s[74:75], s[78:79]
	s_andn2_b64 exec, exec, s[72:73]
	s_cbranch_execz .LBB10_109
.LBB10_105:                             ;   Parent Loop BB10_49 Depth=1
                                        ; =>  This Inner Loop Header: Depth=2
	s_add_i32 s92, s92, 1
	s_cmpk_lg_i32 s92, 0x2710
	s_cselect_b64 s[78:79], -1, 0
	s_and_b64 vcc, exec, s[78:79]
	s_cbranch_vccz .LBB10_107
; %bb.106:                              ;   in Loop: Header=BB10_105 Depth=2
	s_mov_b64 s[90:91], -1
	s_or_b64 s[76:77], s[76:77], exec
	s_and_saveexec_b64 s[88:89], s[78:79]
	s_cbranch_execz .LBB10_104
	s_branch .LBB10_108
.LBB10_107:                             ;   in Loop: Header=BB10_105 Depth=2
	s_trap 2
	ds_read_b64 v[4:5], v0
	s_andn2_b64 s[78:79], s[78:79], exec
	s_mov_b32 s92, 0
	s_waitcnt lgkmcnt(0)
	flat_load_dword v1, v[4:5] glc
	s_waitcnt vmcnt(0) lgkmcnt(0)
	buffer_wbinvl1_vol
	v_cmp_eq_u32_e32 vcc, 0, v1
	s_and_b64 s[88:89], vcc, exec
	s_or_b64 s[78:79], s[78:79], s[88:89]
	s_mov_b64 s[90:91], -1
	s_or_b64 s[76:77], s[76:77], exec
	s_and_saveexec_b64 s[88:89], s[78:79]
	s_cbranch_execz .LBB10_104
.LBB10_108:                             ;   in Loop: Header=BB10_105 Depth=2
	s_sleep 1
	s_trap 2
	ds_read_b64 v[4:5], v0
	s_waitcnt lgkmcnt(0)
	s_andn2_b64 s[76:77], s[76:77], exec
	v_cmp_ge_u64_e32 vcc, v[4:5], v[44:45]
	s_orn2_b64 s[90:91], vcc, exec
	s_branch .LBB10_104
.LBB10_109:                             ;   in Loop: Header=BB10_49 Depth=1
	s_or_b64 exec, exec, s[72:73]
	s_and_saveexec_b64 s[72:73], s[74:75]
	s_xor_b64 s[72:73], exec, s[72:73]
	s_cbranch_execz .LBB10_111
; %bb.110:                              ;   in Loop: Header=BB10_49 Depth=1
	v_mov_b32_e32 v1, 1
	ds_write_b32 v0, v1
	s_trap 2
.LBB10_111:                             ;   in Loop: Header=BB10_49 Depth=1
	s_or_b64 exec, exec, s[62:63]
	;;#ASMSTART
	s_wakeup
	;;#ASMEND
.LBB10_112:                             ;   in Loop: Header=BB10_49 Depth=1
	s_or_b64 exec, exec, s[60:61]
.LBB10_113:                             ;   in Loop: Header=BB10_49 Depth=1
	s_andn2_saveexec_b64 s[58:59], s[58:59]
	s_cbranch_execz .LBB10_115
; %bb.114:                              ;   in Loop: Header=BB10_49 Depth=1
	s_waitcnt vmcnt(0) lgkmcnt(0)
	buffer_wbinvl1_vol
	s_barrier
.LBB10_115:                             ;   in Loop: Header=BB10_49 Depth=1
	s_or_b64 exec, exec, s[58:59]
.LBB10_116:                             ;   in Loop: Header=BB10_49 Depth=1
	s_or_b64 exec, exec, s[20:21]
	s_trap 2
	s_waitcnt lgkmcnt(0)
	ds_read_b64 v[35:36], v0
	s_waitcnt lgkmcnt(0)
	v_cmp_eq_u64_e32 vcc, 0, v[35:36]
	s_cbranch_vccnz .LBB10_124
; %bb.117:                              ;   in Loop: Header=BB10_49 Depth=1
	s_trap 2
	ds_read_b64 v[4:5], v0
	s_waitcnt lgkmcnt(0)
	buffer_store_dword v4, off, s[0:3], s33 offset:128 ; 4-byte Folded Spill
	s_nop 0
	buffer_store_dword v5, off, s[0:3], s33 offset:132 ; 4-byte Folded Spill
	v_cmp_eq_u64_e32 vcc, 0, v[4:5]
	s_cbranch_vccnz .LBB10_124
; %bb.118:                              ;   in Loop: Header=BB10_49 Depth=1
	s_mov_b64 s[20:21], -1
	s_and_saveexec_b64 s[58:59], s[14:15]
	s_cbranch_execz .LBB10_120
; %bb.119:                              ;   in Loop: Header=BB10_49 Depth=1
	ds_read_b32 v1, v0 offset:720
	s_waitcnt lgkmcnt(0)
	v_and_b32_e32 v1, 15, v1
	v_cmp_eq_u32_e32 vcc, 0, v1
	s_orn2_b64 s[20:21], vcc, exec
.LBB10_120:                             ;   in Loop: Header=BB10_49 Depth=1
	s_or_b64 exec, exec, s[58:59]
	s_and_saveexec_b64 s[58:59], s[16:17]
	s_cbranch_execz .LBB10_122
; %bb.121:                              ;   in Loop: Header=BB10_49 Depth=1
	ds_read_b32 v1, v0 offset:784
	s_waitcnt lgkmcnt(0)
	v_and_b32_e32 v1, 15, v1
	v_cmp_eq_u32_e32 vcc, 0, v1
	s_and_b64 s[60:61], s[20:21], vcc
	s_andn2_b64 s[20:21], s[20:21], exec
	s_and_b64 s[60:61], s[60:61], exec
	s_or_b64 s[20:21], s[20:21], s[60:61]
.LBB10_122:                             ;   in Loop: Header=BB10_49 Depth=1
	s_or_b64 exec, exec, s[58:59]
	v_cmp_eq_u32_e32 vcc, 0, v0
	s_xor_b64 s[20:21], s[20:21], -1
	v_cndmask_b32_e32 v8, 0, v55, vcc
	v_cndmask_b32_e64 v0, 0, 1, s[20:21]
	v_lshlrev_b32_e32 v4, 1, v8
	s_mov_b64 s[60:61], -1
	v_cmp_ne_u32_e32 vcc, 0, v0
	v_mov_b32_e32 v14, 0
	s_cbranch_vccz .LBB10_125
; %bb.123:                              ;   in Loop: Header=BB10_49 Depth=1
	buffer_load_dword v15, off, s[0:3], s33 offset:136 ; 4-byte Folded Reload
	v_mov_b32_e32 v0, v32
	s_and_saveexec_b64 s[20:21], s[60:61]
	s_cbranch_execnz .LBB10_298
	s_branch .LBB10_374
.LBB10_124:                             ;   in Loop: Header=BB10_49 Depth=1
	s_mov_b64 s[20:21], 0
	s_and_saveexec_b64 s[58:59], s[10:11]
	s_cbranch_execnz .LBB10_375
	s_branch .LBB10_393
.LBB10_125:                             ;   in Loop: Header=BB10_49 Depth=1
	v_lshrrev_b32_e32 v0, 11, v8
	v_sub_u32_e32 v43, v0, v32
	v_cmp_lt_i32_e32 vcc, 0, v43
	s_and_saveexec_b64 s[20:21], vcc
	s_cbranch_execz .LBB10_257
; %bb.126:                              ;   in Loop: Header=BB10_49 Depth=1
	buffer_store_dword v0, off, s[0:3], s33 offset:196 ; 4-byte Folded Spill
	buffer_store_dword v4, off, s[0:3], s33 offset:172 ; 4-byte Folded Spill
	;; [unrolled: 1-line block ×3, first 2 shown]
	s_trap 2
	buffer_load_dword v4, off, s[0:3], s33 offset:204 ; 4-byte Folded Reload
	buffer_load_dword v5, off, s[0:3], s33 offset:208 ; 4-byte Folded Reload
	ds_read_b64 v[0:1], v0
	s_mov_b64 s[58:59], 0
	s_waitcnt vmcnt(1)
	v_add_co_u32_e32 v58, vcc, v35, v4
	buffer_store_dword v35, off, s[0:3], s33 offset:164 ; 4-byte Folded Spill
	s_nop 0
	buffer_store_dword v36, off, s[0:3], s33 offset:168 ; 4-byte Folded Spill
	s_waitcnt vmcnt(2)
	v_addc_co_u32_e32 v59, vcc, v36, v5, vcc
	s_waitcnt lgkmcnt(0)
	v_add_co_u32_e32 v52, vcc, v0, v4
	v_addc_co_u32_e32 v53, vcc, v1, v5, vcc
	buffer_load_dword v0, off, s[0:3], s33 offset:128 ; 4-byte Folded Reload
	buffer_load_dword v1, off, s[0:3], s33 offset:132 ; 4-byte Folded Reload
	s_waitcnt vmcnt(1)
	v_add_co_u32_e32 v0, vcc, v0, v4
	s_waitcnt vmcnt(0)
	v_addc_co_u32_e32 v1, vcc, v1, v5, vcc
	s_branch .LBB10_128
.LBB10_127:                             ;   in Loop: Header=BB10_128 Depth=2
	s_or_b64 exec, exec, s[60:61]
	v_lshrrev_b32_e32 v4, 16, v22
	v_and_or_b32 v5, v19, s37, v4
	v_lshrrev_b32_e32 v4, 16, v35
	v_lshrrev_b32_e32 v8, 16, v32
	v_and_or_b32 v4, v18, s37, v4
	v_and_or_b32 v18, v27, s37, v8
	v_lshrrev_b32_e32 v8, 16, v51
	v_and_or_b32 v17, v26, s37, v8
	v_lshrrev_b32_e32 v8, 16, v33
	v_lshrrev_b32_e32 v6, 16, v23
	v_and_or_b32 v19, v28, s37, v8
	v_lshrrev_b32_e32 v8, 16, v34
	v_and_or_b32 v6, v20, s37, v6
	v_and_or_b32 v20, v29, s37, v8
	v_lshrrev_b32_e32 v8, 16, v48
	v_lshrrev_b32_e32 v7, 16, v24
	v_and_or_b32 v22, v37, s37, v8
	v_lshrrev_b32_e32 v8, 16, v61
	v_and_or_b32 v7, v21, s37, v7
	v_and_or_b32 v21, v36, s37, v8
	v_lshrrev_b32_e32 v8, 16, v49
	v_and_or_b32 v23, v38, s37, v8
	v_lshrrev_b32_e32 v8, 16, v50
	;; [unrolled: 2-line block ×5, first 2 shown]
	v_lshrrev_b32_e32 v11, 16, v16
	v_and_or_b32 v10, v12, s37, v10
	v_and_or_b32 v11, v13, s37, v11
	global_store_dwordx4 v[0:1], v[21:24], off glc slc
	global_store_dwordx4 v[0:1], v[17:20], off offset:1024 glc slc
	global_store_dwordx4 v[0:1], v[4:7], off offset:2048 glc slc
	;; [unrolled: 1-line block ×3, first 2 shown]
	v_mov_b32_e32 v4, v31
	v_add_co_u32_e32 v58, vcc, v58, v4
	v_addc_co_u32_e32 v59, vcc, 0, v59, vcc
	v_add_co_u32_e32 v52, vcc, v52, v4
	v_addc_co_u32_e32 v53, vcc, 0, v53, vcc
	v_sub_u32_e32 v43, v43, v57
	v_cmp_gt_i32_e32 vcc, 1, v43
	s_or_b64 s[58:59], vcc, s[58:59]
	v_add_co_u32_e32 v0, vcc, v0, v4
	v_addc_co_u32_e32 v1, vcc, 0, v1, vcc
	s_andn2_b64 exec, exec, s[58:59]
	s_cbranch_execz .LBB10_256
.LBB10_128:                             ;   Parent Loop BB10_49 Depth=1
                                        ; =>  This Inner Loop Header: Depth=2
	global_load_dwordx4 v[36:39], v[58:59], off glc slc
	global_load_dwordx4 v[26:29], v[58:59], off offset:1024 glc slc
	global_load_dwordx4 v[48:51], v[52:53], off glc slc
	global_load_dwordx4 v[18:21], v[58:59], off offset:2048 glc slc
	global_load_dwordx4 v[10:13], v[58:59], off offset:3072 glc slc
	;; [unrolled: 1-line block ×5, first 2 shown]
                                        ; implicit-def: $vgpr61
	s_waitcnt vmcnt(7)
	v_lshlrev_b32_e32 v4, 16, v36
	s_waitcnt vmcnt(5)
	v_lshlrev_b32_e32 v5, 16, v48
	v_add_f32_e32 v62, v4, v5
	v_and_b32_e32 v4, 0x7f800000, v62
	v_cmp_ne_u32_e32 vcc, s35, v4
	s_and_saveexec_b64 s[60:61], vcc
	s_xor_b64 s[60:61], exec, s[60:61]
; %bb.129:                              ;   in Loop: Header=BB10_128 Depth=2
	v_bfe_u32 v4, v62, 16, 1
	v_add3_u32 v61, v62, v4, s36
                                        ; implicit-def: $vgpr62
; %bb.130:                              ;   in Loop: Header=BB10_128 Depth=2
	s_andn2_saveexec_b64 s[60:61], s[60:61]
; %bb.131:                              ;   in Loop: Header=BB10_128 Depth=2
	v_or_b32_e32 v4, 0x10000, v62
	v_cmp_eq_u32_sdwa vcc, v62, v60 src0_sel:WORD_0 src1_sel:DWORD
	v_cndmask_b32_e32 v61, v4, v62, vcc
; %bb.132:                              ;   in Loop: Header=BB10_128 Depth=2
	s_or_b64 exec, exec, s[60:61]
	v_and_b32_e32 v4, 0xffff0000, v36
	v_and_b32_e32 v5, 0xffff0000, v48
	v_add_f32_e32 v48, v4, v5
	v_and_b32_e32 v4, 0x7f800000, v48
	v_cmp_ne_u32_e32 vcc, s35, v4
                                        ; implicit-def: $vgpr36
	s_and_saveexec_b64 s[60:61], vcc
	s_xor_b64 s[60:61], exec, s[60:61]
; %bb.133:                              ;   in Loop: Header=BB10_128 Depth=2
	v_bfe_u32 v4, v48, 16, 1
	v_add3_u32 v36, v48, v4, s36
                                        ; implicit-def: $vgpr48
; %bb.134:                              ;   in Loop: Header=BB10_128 Depth=2
	s_andn2_saveexec_b64 s[60:61], s[60:61]
; %bb.135:                              ;   in Loop: Header=BB10_128 Depth=2
	v_or_b32_e32 v4, 0x10000, v48
	v_cmp_eq_u32_sdwa vcc, v48, v60 src0_sel:WORD_0 src1_sel:DWORD
	v_cndmask_b32_e32 v36, v4, v48, vcc
; %bb.136:                              ;   in Loop: Header=BB10_128 Depth=2
	s_or_b64 exec, exec, s[60:61]
	v_lshlrev_b32_e32 v4, 16, v37
	v_lshlrev_b32_e32 v5, 16, v49
	v_add_f32_e32 v62, v4, v5
	v_and_b32_e32 v4, 0x7f800000, v62
	v_cmp_ne_u32_e32 vcc, s35, v4
                                        ; implicit-def: $vgpr48
	s_and_saveexec_b64 s[60:61], vcc
	s_xor_b64 s[60:61], exec, s[60:61]
; %bb.137:                              ;   in Loop: Header=BB10_128 Depth=2
	v_bfe_u32 v4, v62, 16, 1
	v_add3_u32 v48, v62, v4, s36
                                        ; implicit-def: $vgpr62
; %bb.138:                              ;   in Loop: Header=BB10_128 Depth=2
	s_andn2_saveexec_b64 s[60:61], s[60:61]
; %bb.139:                              ;   in Loop: Header=BB10_128 Depth=2
	v_or_b32_e32 v4, 0x10000, v62
	v_cmp_eq_u32_sdwa vcc, v62, v60 src0_sel:WORD_0 src1_sel:DWORD
	v_cndmask_b32_e32 v48, v4, v62, vcc
; %bb.140:                              ;   in Loop: Header=BB10_128 Depth=2
	s_or_b64 exec, exec, s[60:61]
	v_and_b32_e32 v4, 0xffff0000, v37
	v_and_b32_e32 v5, 0xffff0000, v49
	v_add_f32_e32 v49, v4, v5
	v_and_b32_e32 v4, 0x7f800000, v49
	v_cmp_ne_u32_e32 vcc, s35, v4
                                        ; implicit-def: $vgpr37
	s_and_saveexec_b64 s[60:61], vcc
	s_xor_b64 s[60:61], exec, s[60:61]
; %bb.141:                              ;   in Loop: Header=BB10_128 Depth=2
	v_bfe_u32 v4, v49, 16, 1
	v_add3_u32 v37, v49, v4, s36
                                        ; implicit-def: $vgpr49
; %bb.142:                              ;   in Loop: Header=BB10_128 Depth=2
	s_andn2_saveexec_b64 s[60:61], s[60:61]
; %bb.143:                              ;   in Loop: Header=BB10_128 Depth=2
	v_or_b32_e32 v4, 0x10000, v49
	v_cmp_eq_u32_sdwa vcc, v49, v60 src0_sel:WORD_0 src1_sel:DWORD
	v_cndmask_b32_e32 v37, v4, v49, vcc
; %bb.144:                              ;   in Loop: Header=BB10_128 Depth=2
	s_or_b64 exec, exec, s[60:61]
	v_lshlrev_b32_e32 v4, 16, v38
	v_lshlrev_b32_e32 v5, 16, v50
	v_add_f32_e32 v62, v4, v5
	v_and_b32_e32 v4, 0x7f800000, v62
	v_cmp_ne_u32_e32 vcc, s35, v4
                                        ; implicit-def: $vgpr49
	s_and_saveexec_b64 s[60:61], vcc
	s_xor_b64 s[60:61], exec, s[60:61]
; %bb.145:                              ;   in Loop: Header=BB10_128 Depth=2
	v_bfe_u32 v4, v62, 16, 1
	v_add3_u32 v49, v62, v4, s36
                                        ; implicit-def: $vgpr62
; %bb.146:                              ;   in Loop: Header=BB10_128 Depth=2
	s_andn2_saveexec_b64 s[60:61], s[60:61]
; %bb.147:                              ;   in Loop: Header=BB10_128 Depth=2
	v_or_b32_e32 v4, 0x10000, v62
	v_cmp_eq_u32_sdwa vcc, v62, v60 src0_sel:WORD_0 src1_sel:DWORD
	v_cndmask_b32_e32 v49, v4, v62, vcc
; %bb.148:                              ;   in Loop: Header=BB10_128 Depth=2
	s_or_b64 exec, exec, s[60:61]
	v_and_b32_e32 v4, 0xffff0000, v38
	v_and_b32_e32 v5, 0xffff0000, v50
	v_add_f32_e32 v50, v4, v5
	v_and_b32_e32 v4, 0x7f800000, v50
	v_cmp_ne_u32_e32 vcc, s35, v4
                                        ; implicit-def: $vgpr38
	s_and_saveexec_b64 s[60:61], vcc
	s_xor_b64 s[60:61], exec, s[60:61]
; %bb.149:                              ;   in Loop: Header=BB10_128 Depth=2
	v_bfe_u32 v4, v50, 16, 1
	v_add3_u32 v38, v50, v4, s36
                                        ; implicit-def: $vgpr50
; %bb.150:                              ;   in Loop: Header=BB10_128 Depth=2
	s_andn2_saveexec_b64 s[60:61], s[60:61]
; %bb.151:                              ;   in Loop: Header=BB10_128 Depth=2
	v_or_b32_e32 v4, 0x10000, v50
	v_cmp_eq_u32_sdwa vcc, v50, v60 src0_sel:WORD_0 src1_sel:DWORD
	v_cndmask_b32_e32 v38, v4, v50, vcc
; %bb.152:                              ;   in Loop: Header=BB10_128 Depth=2
	s_or_b64 exec, exec, s[60:61]
	v_lshlrev_b32_e32 v4, 16, v39
	v_lshlrev_b32_e32 v5, 16, v51
	v_add_f32_e32 v62, v4, v5
	v_and_b32_e32 v4, 0x7f800000, v62
	v_cmp_ne_u32_e32 vcc, s35, v4
                                        ; implicit-def: $vgpr50
	s_and_saveexec_b64 s[60:61], vcc
	s_xor_b64 s[60:61], exec, s[60:61]
; %bb.153:                              ;   in Loop: Header=BB10_128 Depth=2
	v_bfe_u32 v4, v62, 16, 1
	v_add3_u32 v50, v62, v4, s36
                                        ; implicit-def: $vgpr62
; %bb.154:                              ;   in Loop: Header=BB10_128 Depth=2
	s_andn2_saveexec_b64 s[60:61], s[60:61]
; %bb.155:                              ;   in Loop: Header=BB10_128 Depth=2
	v_or_b32_e32 v4, 0x10000, v62
	v_cmp_eq_u32_sdwa vcc, v62, v60 src0_sel:WORD_0 src1_sel:DWORD
	v_cndmask_b32_e32 v50, v4, v62, vcc
; %bb.156:                              ;   in Loop: Header=BB10_128 Depth=2
	s_or_b64 exec, exec, s[60:61]
	v_and_b32_e32 v4, 0xffff0000, v39
	v_and_b32_e32 v5, 0xffff0000, v51
	v_add_f32_e32 v51, v4, v5
	v_and_b32_e32 v4, 0x7f800000, v51
	v_cmp_ne_u32_e32 vcc, s35, v4
                                        ; implicit-def: $vgpr39
	s_and_saveexec_b64 s[60:61], vcc
	s_xor_b64 s[60:61], exec, s[60:61]
; %bb.157:                              ;   in Loop: Header=BB10_128 Depth=2
	v_bfe_u32 v4, v51, 16, 1
	v_add3_u32 v39, v51, v4, s36
                                        ; implicit-def: $vgpr51
; %bb.158:                              ;   in Loop: Header=BB10_128 Depth=2
	s_andn2_saveexec_b64 s[60:61], s[60:61]
; %bb.159:                              ;   in Loop: Header=BB10_128 Depth=2
	v_or_b32_e32 v4, 0x10000, v51
	v_cmp_eq_u32_sdwa vcc, v51, v60 src0_sel:WORD_0 src1_sel:DWORD
	v_cndmask_b32_e32 v39, v4, v51, vcc
; %bb.160:                              ;   in Loop: Header=BB10_128 Depth=2
	s_or_b64 exec, exec, s[60:61]
	v_lshlrev_b32_e32 v4, 16, v26
	s_waitcnt vmcnt(2)
	v_lshlrev_b32_e32 v5, 16, v32
	v_add_f32_e32 v62, v4, v5
	v_and_b32_e32 v4, 0x7f800000, v62
	v_cmp_ne_u32_e32 vcc, s35, v4
                                        ; implicit-def: $vgpr51
	s_and_saveexec_b64 s[60:61], vcc
	s_xor_b64 s[60:61], exec, s[60:61]
; %bb.161:                              ;   in Loop: Header=BB10_128 Depth=2
	v_bfe_u32 v4, v62, 16, 1
	v_add3_u32 v51, v62, v4, s36
                                        ; implicit-def: $vgpr62
; %bb.162:                              ;   in Loop: Header=BB10_128 Depth=2
	s_andn2_saveexec_b64 s[60:61], s[60:61]
; %bb.163:                              ;   in Loop: Header=BB10_128 Depth=2
	v_or_b32_e32 v4, 0x10000, v62
	v_cmp_eq_u32_sdwa vcc, v62, v60 src0_sel:WORD_0 src1_sel:DWORD
	v_cndmask_b32_e32 v51, v4, v62, vcc
; %bb.164:                              ;   in Loop: Header=BB10_128 Depth=2
	s_or_b64 exec, exec, s[60:61]
	v_and_b32_e32 v4, 0xffff0000, v26
	v_and_b32_e32 v5, 0xffff0000, v32
	v_add_f32_e32 v32, v4, v5
	v_and_b32_e32 v4, 0x7f800000, v32
	v_cmp_ne_u32_e32 vcc, s35, v4
                                        ; implicit-def: $vgpr26
	s_and_saveexec_b64 s[60:61], vcc
	s_xor_b64 s[60:61], exec, s[60:61]
; %bb.165:                              ;   in Loop: Header=BB10_128 Depth=2
	v_bfe_u32 v4, v32, 16, 1
	v_add3_u32 v26, v32, v4, s36
                                        ; implicit-def: $vgpr32
; %bb.166:                              ;   in Loop: Header=BB10_128 Depth=2
	s_andn2_saveexec_b64 s[60:61], s[60:61]
; %bb.167:                              ;   in Loop: Header=BB10_128 Depth=2
	v_or_b32_e32 v4, 0x10000, v32
	v_cmp_eq_u32_sdwa vcc, v32, v60 src0_sel:WORD_0 src1_sel:DWORD
	v_cndmask_b32_e32 v26, v4, v32, vcc
; %bb.168:                              ;   in Loop: Header=BB10_128 Depth=2
	s_or_b64 exec, exec, s[60:61]
	v_lshlrev_b32_e32 v4, 16, v27
	v_lshlrev_b32_e32 v5, 16, v33
	v_add_f32_e32 v62, v4, v5
	v_and_b32_e32 v4, 0x7f800000, v62
	v_cmp_ne_u32_e32 vcc, s35, v4
                                        ; implicit-def: $vgpr32
	s_and_saveexec_b64 s[60:61], vcc
	s_xor_b64 s[60:61], exec, s[60:61]
; %bb.169:                              ;   in Loop: Header=BB10_128 Depth=2
	v_bfe_u32 v4, v62, 16, 1
	v_add3_u32 v32, v62, v4, s36
                                        ; implicit-def: $vgpr62
; %bb.170:                              ;   in Loop: Header=BB10_128 Depth=2
	s_andn2_saveexec_b64 s[60:61], s[60:61]
; %bb.171:                              ;   in Loop: Header=BB10_128 Depth=2
	v_or_b32_e32 v4, 0x10000, v62
	v_cmp_eq_u32_sdwa vcc, v62, v60 src0_sel:WORD_0 src1_sel:DWORD
	v_cndmask_b32_e32 v32, v4, v62, vcc
; %bb.172:                              ;   in Loop: Header=BB10_128 Depth=2
	s_or_b64 exec, exec, s[60:61]
	v_and_b32_e32 v4, 0xffff0000, v27
	v_and_b32_e32 v5, 0xffff0000, v33
	v_add_f32_e32 v33, v4, v5
	v_and_b32_e32 v4, 0x7f800000, v33
	v_cmp_ne_u32_e32 vcc, s35, v4
                                        ; implicit-def: $vgpr27
	s_and_saveexec_b64 s[60:61], vcc
	s_xor_b64 s[60:61], exec, s[60:61]
; %bb.173:                              ;   in Loop: Header=BB10_128 Depth=2
	v_bfe_u32 v4, v33, 16, 1
	v_add3_u32 v27, v33, v4, s36
                                        ; implicit-def: $vgpr33
; %bb.174:                              ;   in Loop: Header=BB10_128 Depth=2
	s_andn2_saveexec_b64 s[60:61], s[60:61]
; %bb.175:                              ;   in Loop: Header=BB10_128 Depth=2
	v_or_b32_e32 v4, 0x10000, v33
	v_cmp_eq_u32_sdwa vcc, v33, v60 src0_sel:WORD_0 src1_sel:DWORD
	v_cndmask_b32_e32 v27, v4, v33, vcc
; %bb.176:                              ;   in Loop: Header=BB10_128 Depth=2
	s_or_b64 exec, exec, s[60:61]
	v_lshlrev_b32_e32 v4, 16, v28
	v_lshlrev_b32_e32 v5, 16, v34
	v_add_f32_e32 v62, v4, v5
	v_and_b32_e32 v4, 0x7f800000, v62
	v_cmp_ne_u32_e32 vcc, s35, v4
                                        ; implicit-def: $vgpr33
	s_and_saveexec_b64 s[60:61], vcc
	s_xor_b64 s[60:61], exec, s[60:61]
; %bb.177:                              ;   in Loop: Header=BB10_128 Depth=2
	v_bfe_u32 v4, v62, 16, 1
	v_add3_u32 v33, v62, v4, s36
                                        ; implicit-def: $vgpr62
; %bb.178:                              ;   in Loop: Header=BB10_128 Depth=2
	s_andn2_saveexec_b64 s[60:61], s[60:61]
; %bb.179:                              ;   in Loop: Header=BB10_128 Depth=2
	v_or_b32_e32 v4, 0x10000, v62
	v_cmp_eq_u32_sdwa vcc, v62, v60 src0_sel:WORD_0 src1_sel:DWORD
	v_cndmask_b32_e32 v33, v4, v62, vcc
; %bb.180:                              ;   in Loop: Header=BB10_128 Depth=2
	s_or_b64 exec, exec, s[60:61]
	v_and_b32_e32 v4, 0xffff0000, v28
	v_and_b32_e32 v5, 0xffff0000, v34
	v_add_f32_e32 v34, v4, v5
	v_and_b32_e32 v4, 0x7f800000, v34
	v_cmp_ne_u32_e32 vcc, s35, v4
                                        ; implicit-def: $vgpr28
	s_and_saveexec_b64 s[60:61], vcc
	s_xor_b64 s[60:61], exec, s[60:61]
; %bb.181:                              ;   in Loop: Header=BB10_128 Depth=2
	v_bfe_u32 v4, v34, 16, 1
	v_add3_u32 v28, v34, v4, s36
                                        ; implicit-def: $vgpr34
; %bb.182:                              ;   in Loop: Header=BB10_128 Depth=2
	s_andn2_saveexec_b64 s[60:61], s[60:61]
; %bb.183:                              ;   in Loop: Header=BB10_128 Depth=2
	v_or_b32_e32 v4, 0x10000, v34
	v_cmp_eq_u32_sdwa vcc, v34, v60 src0_sel:WORD_0 src1_sel:DWORD
	v_cndmask_b32_e32 v28, v4, v34, vcc
; %bb.184:                              ;   in Loop: Header=BB10_128 Depth=2
	s_or_b64 exec, exec, s[60:61]
	v_lshlrev_b32_e32 v4, 16, v29
	v_lshlrev_b32_e32 v5, 16, v35
	v_add_f32_e32 v62, v4, v5
	v_and_b32_e32 v4, 0x7f800000, v62
	v_cmp_ne_u32_e32 vcc, s35, v4
                                        ; implicit-def: $vgpr34
	s_and_saveexec_b64 s[60:61], vcc
	s_xor_b64 s[60:61], exec, s[60:61]
; %bb.185:                              ;   in Loop: Header=BB10_128 Depth=2
	v_bfe_u32 v4, v62, 16, 1
	v_add3_u32 v34, v62, v4, s36
                                        ; implicit-def: $vgpr62
; %bb.186:                              ;   in Loop: Header=BB10_128 Depth=2
	s_andn2_saveexec_b64 s[60:61], s[60:61]
; %bb.187:                              ;   in Loop: Header=BB10_128 Depth=2
	v_or_b32_e32 v4, 0x10000, v62
	v_cmp_eq_u32_sdwa vcc, v62, v60 src0_sel:WORD_0 src1_sel:DWORD
	v_cndmask_b32_e32 v34, v4, v62, vcc
; %bb.188:                              ;   in Loop: Header=BB10_128 Depth=2
	s_or_b64 exec, exec, s[60:61]
	v_and_b32_e32 v4, 0xffff0000, v29
	v_and_b32_e32 v5, 0xffff0000, v35
	v_add_f32_e32 v35, v4, v5
	v_and_b32_e32 v4, 0x7f800000, v35
	v_cmp_ne_u32_e32 vcc, s35, v4
                                        ; implicit-def: $vgpr29
	s_and_saveexec_b64 s[60:61], vcc
	s_xor_b64 s[60:61], exec, s[60:61]
; %bb.189:                              ;   in Loop: Header=BB10_128 Depth=2
	v_bfe_u32 v4, v35, 16, 1
	v_add3_u32 v29, v35, v4, s36
                                        ; implicit-def: $vgpr35
; %bb.190:                              ;   in Loop: Header=BB10_128 Depth=2
	s_andn2_saveexec_b64 s[60:61], s[60:61]
; %bb.191:                              ;   in Loop: Header=BB10_128 Depth=2
	v_or_b32_e32 v4, 0x10000, v35
	v_cmp_eq_u32_sdwa vcc, v35, v60 src0_sel:WORD_0 src1_sel:DWORD
	v_cndmask_b32_e32 v29, v4, v35, vcc
; %bb.192:                              ;   in Loop: Header=BB10_128 Depth=2
	s_or_b64 exec, exec, s[60:61]
	v_lshlrev_b32_e32 v4, 16, v18
	s_waitcnt vmcnt(1)
	v_lshlrev_b32_e32 v5, 16, v22
	v_add_f32_e32 v62, v4, v5
	v_and_b32_e32 v4, 0x7f800000, v62
	v_cmp_ne_u32_e32 vcc, s35, v4
                                        ; implicit-def: $vgpr35
	s_and_saveexec_b64 s[60:61], vcc
	s_xor_b64 s[60:61], exec, s[60:61]
; %bb.193:                              ;   in Loop: Header=BB10_128 Depth=2
	v_bfe_u32 v4, v62, 16, 1
	v_add3_u32 v35, v62, v4, s36
                                        ; implicit-def: $vgpr62
; %bb.194:                              ;   in Loop: Header=BB10_128 Depth=2
	s_andn2_saveexec_b64 s[60:61], s[60:61]
; %bb.195:                              ;   in Loop: Header=BB10_128 Depth=2
	v_or_b32_e32 v4, 0x10000, v62
	v_cmp_eq_u32_sdwa vcc, v62, v60 src0_sel:WORD_0 src1_sel:DWORD
	v_cndmask_b32_e32 v35, v4, v62, vcc
; %bb.196:                              ;   in Loop: Header=BB10_128 Depth=2
	s_or_b64 exec, exec, s[60:61]
	v_and_b32_e32 v4, 0xffff0000, v18
	v_and_b32_e32 v5, 0xffff0000, v22
	v_add_f32_e32 v22, v4, v5
	v_and_b32_e32 v4, 0x7f800000, v22
	v_cmp_ne_u32_e32 vcc, s35, v4
                                        ; implicit-def: $vgpr18
	s_and_saveexec_b64 s[60:61], vcc
	s_xor_b64 s[60:61], exec, s[60:61]
; %bb.197:                              ;   in Loop: Header=BB10_128 Depth=2
	v_bfe_u32 v4, v22, 16, 1
	v_add3_u32 v18, v22, v4, s36
                                        ; implicit-def: $vgpr22
; %bb.198:                              ;   in Loop: Header=BB10_128 Depth=2
	s_andn2_saveexec_b64 s[60:61], s[60:61]
; %bb.199:                              ;   in Loop: Header=BB10_128 Depth=2
	v_or_b32_e32 v4, 0x10000, v22
	v_cmp_eq_u32_sdwa vcc, v22, v60 src0_sel:WORD_0 src1_sel:DWORD
	v_cndmask_b32_e32 v18, v4, v22, vcc
; %bb.200:                              ;   in Loop: Header=BB10_128 Depth=2
	s_or_b64 exec, exec, s[60:61]
	v_lshlrev_b32_e32 v4, 16, v19
	v_lshlrev_b32_e32 v5, 16, v23
	v_add_f32_e32 v62, v4, v5
	v_and_b32_e32 v4, 0x7f800000, v62
	v_cmp_ne_u32_e32 vcc, s35, v4
                                        ; implicit-def: $vgpr22
	s_and_saveexec_b64 s[60:61], vcc
	s_xor_b64 s[60:61], exec, s[60:61]
; %bb.201:                              ;   in Loop: Header=BB10_128 Depth=2
	v_bfe_u32 v4, v62, 16, 1
	v_add3_u32 v22, v62, v4, s36
                                        ; implicit-def: $vgpr62
; %bb.202:                              ;   in Loop: Header=BB10_128 Depth=2
	s_andn2_saveexec_b64 s[60:61], s[60:61]
; %bb.203:                              ;   in Loop: Header=BB10_128 Depth=2
	v_or_b32_e32 v4, 0x10000, v62
	v_cmp_eq_u32_sdwa vcc, v62, v60 src0_sel:WORD_0 src1_sel:DWORD
	v_cndmask_b32_e32 v22, v4, v62, vcc
; %bb.204:                              ;   in Loop: Header=BB10_128 Depth=2
	s_or_b64 exec, exec, s[60:61]
	v_and_b32_e32 v4, 0xffff0000, v19
	v_and_b32_e32 v5, 0xffff0000, v23
	v_add_f32_e32 v23, v4, v5
	v_and_b32_e32 v4, 0x7f800000, v23
	v_cmp_ne_u32_e32 vcc, s35, v4
                                        ; implicit-def: $vgpr19
	s_and_saveexec_b64 s[60:61], vcc
	s_xor_b64 s[60:61], exec, s[60:61]
; %bb.205:                              ;   in Loop: Header=BB10_128 Depth=2
	v_bfe_u32 v4, v23, 16, 1
	v_add3_u32 v19, v23, v4, s36
                                        ; implicit-def: $vgpr23
; %bb.206:                              ;   in Loop: Header=BB10_128 Depth=2
	s_andn2_saveexec_b64 s[60:61], s[60:61]
; %bb.207:                              ;   in Loop: Header=BB10_128 Depth=2
	v_or_b32_e32 v4, 0x10000, v23
	v_cmp_eq_u32_sdwa vcc, v23, v60 src0_sel:WORD_0 src1_sel:DWORD
	v_cndmask_b32_e32 v19, v4, v23, vcc
; %bb.208:                              ;   in Loop: Header=BB10_128 Depth=2
	s_or_b64 exec, exec, s[60:61]
	v_lshlrev_b32_e32 v4, 16, v20
	v_lshlrev_b32_e32 v5, 16, v24
	v_add_f32_e32 v62, v4, v5
	v_and_b32_e32 v4, 0x7f800000, v62
	v_cmp_ne_u32_e32 vcc, s35, v4
                                        ; implicit-def: $vgpr23
	s_and_saveexec_b64 s[60:61], vcc
	s_xor_b64 s[60:61], exec, s[60:61]
; %bb.209:                              ;   in Loop: Header=BB10_128 Depth=2
	v_bfe_u32 v4, v62, 16, 1
	v_add3_u32 v23, v62, v4, s36
                                        ; implicit-def: $vgpr62
; %bb.210:                              ;   in Loop: Header=BB10_128 Depth=2
	s_andn2_saveexec_b64 s[60:61], s[60:61]
; %bb.211:                              ;   in Loop: Header=BB10_128 Depth=2
	v_or_b32_e32 v4, 0x10000, v62
	v_cmp_eq_u32_sdwa vcc, v62, v60 src0_sel:WORD_0 src1_sel:DWORD
	v_cndmask_b32_e32 v23, v4, v62, vcc
; %bb.212:                              ;   in Loop: Header=BB10_128 Depth=2
	s_or_b64 exec, exec, s[60:61]
	v_and_b32_e32 v4, 0xffff0000, v20
	v_and_b32_e32 v5, 0xffff0000, v24
	v_add_f32_e32 v24, v4, v5
	v_and_b32_e32 v4, 0x7f800000, v24
	v_cmp_ne_u32_e32 vcc, s35, v4
                                        ; implicit-def: $vgpr20
	s_and_saveexec_b64 s[60:61], vcc
	s_xor_b64 s[60:61], exec, s[60:61]
; %bb.213:                              ;   in Loop: Header=BB10_128 Depth=2
	v_bfe_u32 v4, v24, 16, 1
	v_add3_u32 v20, v24, v4, s36
                                        ; implicit-def: $vgpr24
; %bb.214:                              ;   in Loop: Header=BB10_128 Depth=2
	s_andn2_saveexec_b64 s[60:61], s[60:61]
; %bb.215:                              ;   in Loop: Header=BB10_128 Depth=2
	v_or_b32_e32 v4, 0x10000, v24
	v_cmp_eq_u32_sdwa vcc, v24, v60 src0_sel:WORD_0 src1_sel:DWORD
	v_cndmask_b32_e32 v20, v4, v24, vcc
; %bb.216:                              ;   in Loop: Header=BB10_128 Depth=2
	s_or_b64 exec, exec, s[60:61]
	v_lshlrev_b32_e32 v4, 16, v21
	v_lshlrev_b32_e32 v5, 16, v25
	v_add_f32_e32 v62, v4, v5
	v_and_b32_e32 v4, 0x7f800000, v62
	v_cmp_ne_u32_e32 vcc, s35, v4
                                        ; implicit-def: $vgpr24
	s_and_saveexec_b64 s[60:61], vcc
	s_xor_b64 s[60:61], exec, s[60:61]
; %bb.217:                              ;   in Loop: Header=BB10_128 Depth=2
	v_bfe_u32 v4, v62, 16, 1
	v_add3_u32 v24, v62, v4, s36
                                        ; implicit-def: $vgpr62
; %bb.218:                              ;   in Loop: Header=BB10_128 Depth=2
	s_andn2_saveexec_b64 s[60:61], s[60:61]
; %bb.219:                              ;   in Loop: Header=BB10_128 Depth=2
	v_or_b32_e32 v4, 0x10000, v62
	v_cmp_eq_u32_sdwa vcc, v62, v60 src0_sel:WORD_0 src1_sel:DWORD
	v_cndmask_b32_e32 v24, v4, v62, vcc
; %bb.220:                              ;   in Loop: Header=BB10_128 Depth=2
	s_or_b64 exec, exec, s[60:61]
	v_and_b32_e32 v4, 0xffff0000, v21
	v_and_b32_e32 v5, 0xffff0000, v25
	v_add_f32_e32 v25, v4, v5
	v_and_b32_e32 v4, 0x7f800000, v25
	v_cmp_ne_u32_e32 vcc, s35, v4
                                        ; implicit-def: $vgpr21
	s_and_saveexec_b64 s[60:61], vcc
	s_xor_b64 s[60:61], exec, s[60:61]
; %bb.221:                              ;   in Loop: Header=BB10_128 Depth=2
	v_bfe_u32 v4, v25, 16, 1
	v_add3_u32 v21, v25, v4, s36
                                        ; implicit-def: $vgpr25
; %bb.222:                              ;   in Loop: Header=BB10_128 Depth=2
	s_andn2_saveexec_b64 s[60:61], s[60:61]
; %bb.223:                              ;   in Loop: Header=BB10_128 Depth=2
	v_or_b32_e32 v4, 0x10000, v25
	v_cmp_eq_u32_sdwa vcc, v25, v60 src0_sel:WORD_0 src1_sel:DWORD
	v_cndmask_b32_e32 v21, v4, v25, vcc
; %bb.224:                              ;   in Loop: Header=BB10_128 Depth=2
	s_or_b64 exec, exec, s[60:61]
	v_lshlrev_b32_e32 v4, 16, v10
	s_waitcnt vmcnt(0)
	v_lshlrev_b32_e32 v5, 16, v14
	v_add_f32_e32 v62, v4, v5
	v_and_b32_e32 v4, 0x7f800000, v62
	v_cmp_ne_u32_e32 vcc, s35, v4
                                        ; implicit-def: $vgpr25
	s_and_saveexec_b64 s[60:61], vcc
	s_xor_b64 s[60:61], exec, s[60:61]
; %bb.225:                              ;   in Loop: Header=BB10_128 Depth=2
	v_bfe_u32 v4, v62, 16, 1
	v_add3_u32 v25, v62, v4, s36
                                        ; implicit-def: $vgpr62
; %bb.226:                              ;   in Loop: Header=BB10_128 Depth=2
	s_andn2_saveexec_b64 s[60:61], s[60:61]
; %bb.227:                              ;   in Loop: Header=BB10_128 Depth=2
	v_or_b32_e32 v4, 0x10000, v62
	v_cmp_eq_u32_sdwa vcc, v62, v60 src0_sel:WORD_0 src1_sel:DWORD
	v_cndmask_b32_e32 v25, v4, v62, vcc
; %bb.228:                              ;   in Loop: Header=BB10_128 Depth=2
	s_or_b64 exec, exec, s[60:61]
	v_and_b32_e32 v4, 0xffff0000, v10
	v_and_b32_e32 v5, 0xffff0000, v14
	v_add_f32_e32 v14, v4, v5
	v_and_b32_e32 v4, 0x7f800000, v14
	v_cmp_ne_u32_e32 vcc, s35, v4
                                        ; implicit-def: $vgpr10
	s_and_saveexec_b64 s[60:61], vcc
	s_xor_b64 s[60:61], exec, s[60:61]
; %bb.229:                              ;   in Loop: Header=BB10_128 Depth=2
	v_bfe_u32 v4, v14, 16, 1
	v_add3_u32 v10, v14, v4, s36
                                        ; implicit-def: $vgpr14
; %bb.230:                              ;   in Loop: Header=BB10_128 Depth=2
	s_andn2_saveexec_b64 s[60:61], s[60:61]
; %bb.231:                              ;   in Loop: Header=BB10_128 Depth=2
	v_or_b32_e32 v4, 0x10000, v14
	v_cmp_eq_u32_sdwa vcc, v14, v60 src0_sel:WORD_0 src1_sel:DWORD
	v_cndmask_b32_e32 v10, v4, v14, vcc
; %bb.232:                              ;   in Loop: Header=BB10_128 Depth=2
	s_or_b64 exec, exec, s[60:61]
	v_lshlrev_b32_e32 v4, 16, v11
	v_lshlrev_b32_e32 v5, 16, v15
	v_add_f32_e32 v62, v4, v5
	v_and_b32_e32 v4, 0x7f800000, v62
	v_cmp_ne_u32_e32 vcc, s35, v4
                                        ; implicit-def: $vgpr14
	s_and_saveexec_b64 s[60:61], vcc
	s_xor_b64 s[60:61], exec, s[60:61]
; %bb.233:                              ;   in Loop: Header=BB10_128 Depth=2
	v_bfe_u32 v4, v62, 16, 1
	v_add3_u32 v14, v62, v4, s36
                                        ; implicit-def: $vgpr62
; %bb.234:                              ;   in Loop: Header=BB10_128 Depth=2
	s_andn2_saveexec_b64 s[60:61], s[60:61]
; %bb.235:                              ;   in Loop: Header=BB10_128 Depth=2
	v_or_b32_e32 v4, 0x10000, v62
	v_cmp_eq_u32_sdwa vcc, v62, v60 src0_sel:WORD_0 src1_sel:DWORD
	v_cndmask_b32_e32 v14, v4, v62, vcc
; %bb.236:                              ;   in Loop: Header=BB10_128 Depth=2
	s_or_b64 exec, exec, s[60:61]
	v_and_b32_e32 v4, 0xffff0000, v11
	v_and_b32_e32 v5, 0xffff0000, v15
	v_add_f32_e32 v15, v4, v5
	v_and_b32_e32 v4, 0x7f800000, v15
	v_cmp_ne_u32_e32 vcc, s35, v4
                                        ; implicit-def: $vgpr11
	s_and_saveexec_b64 s[60:61], vcc
	s_xor_b64 s[60:61], exec, s[60:61]
; %bb.237:                              ;   in Loop: Header=BB10_128 Depth=2
	v_bfe_u32 v4, v15, 16, 1
	v_add3_u32 v11, v15, v4, s36
                                        ; implicit-def: $vgpr15
; %bb.238:                              ;   in Loop: Header=BB10_128 Depth=2
	s_andn2_saveexec_b64 s[60:61], s[60:61]
; %bb.239:                              ;   in Loop: Header=BB10_128 Depth=2
	v_or_b32_e32 v4, 0x10000, v15
	v_cmp_eq_u32_sdwa vcc, v15, v60 src0_sel:WORD_0 src1_sel:DWORD
	v_cndmask_b32_e32 v11, v4, v15, vcc
; %bb.240:                              ;   in Loop: Header=BB10_128 Depth=2
	s_or_b64 exec, exec, s[60:61]
	v_lshlrev_b32_e32 v4, 16, v12
	v_lshlrev_b32_e32 v5, 16, v16
	v_add_f32_e32 v62, v4, v5
	v_and_b32_e32 v4, 0x7f800000, v62
	v_cmp_ne_u32_e32 vcc, s35, v4
                                        ; implicit-def: $vgpr15
	s_and_saveexec_b64 s[60:61], vcc
	s_xor_b64 s[60:61], exec, s[60:61]
; %bb.241:                              ;   in Loop: Header=BB10_128 Depth=2
	v_bfe_u32 v4, v62, 16, 1
	v_add3_u32 v15, v62, v4, s36
                                        ; implicit-def: $vgpr62
; %bb.242:                              ;   in Loop: Header=BB10_128 Depth=2
	s_andn2_saveexec_b64 s[60:61], s[60:61]
; %bb.243:                              ;   in Loop: Header=BB10_128 Depth=2
	v_or_b32_e32 v4, 0x10000, v62
	v_cmp_eq_u32_sdwa vcc, v62, v60 src0_sel:WORD_0 src1_sel:DWORD
	v_cndmask_b32_e32 v15, v4, v62, vcc
; %bb.244:                              ;   in Loop: Header=BB10_128 Depth=2
	s_or_b64 exec, exec, s[60:61]
	v_and_b32_e32 v4, 0xffff0000, v12
	v_and_b32_e32 v5, 0xffff0000, v16
	v_add_f32_e32 v16, v4, v5
	v_and_b32_e32 v4, 0x7f800000, v16
	v_cmp_ne_u32_e32 vcc, s35, v4
                                        ; implicit-def: $vgpr12
	s_and_saveexec_b64 s[60:61], vcc
	s_xor_b64 s[60:61], exec, s[60:61]
; %bb.245:                              ;   in Loop: Header=BB10_128 Depth=2
	v_bfe_u32 v4, v16, 16, 1
	v_add3_u32 v12, v16, v4, s36
                                        ; implicit-def: $vgpr16
; %bb.246:                              ;   in Loop: Header=BB10_128 Depth=2
	s_andn2_saveexec_b64 s[60:61], s[60:61]
; %bb.247:                              ;   in Loop: Header=BB10_128 Depth=2
	v_or_b32_e32 v4, 0x10000, v16
	v_cmp_eq_u32_sdwa vcc, v16, v60 src0_sel:WORD_0 src1_sel:DWORD
	v_cndmask_b32_e32 v12, v4, v16, vcc
; %bb.248:                              ;   in Loop: Header=BB10_128 Depth=2
	s_or_b64 exec, exec, s[60:61]
	v_lshlrev_b32_e32 v4, 16, v13
	v_lshlrev_b32_e32 v5, 16, v17
	v_add_f32_e32 v62, v4, v5
	v_and_b32_e32 v4, 0x7f800000, v62
	v_cmp_ne_u32_e32 vcc, s35, v4
                                        ; implicit-def: $vgpr16
	s_and_saveexec_b64 s[60:61], vcc
	s_xor_b64 s[60:61], exec, s[60:61]
; %bb.249:                              ;   in Loop: Header=BB10_128 Depth=2
	v_bfe_u32 v4, v62, 16, 1
	v_add3_u32 v16, v62, v4, s36
                                        ; implicit-def: $vgpr62
; %bb.250:                              ;   in Loop: Header=BB10_128 Depth=2
	s_andn2_saveexec_b64 s[60:61], s[60:61]
; %bb.251:                              ;   in Loop: Header=BB10_128 Depth=2
	v_or_b32_e32 v4, 0x10000, v62
	v_cmp_eq_u32_sdwa vcc, v62, v60 src0_sel:WORD_0 src1_sel:DWORD
	v_cndmask_b32_e32 v16, v4, v62, vcc
; %bb.252:                              ;   in Loop: Header=BB10_128 Depth=2
	s_or_b64 exec, exec, s[60:61]
	v_and_b32_e32 v4, 0xffff0000, v13
	v_and_b32_e32 v5, 0xffff0000, v17
	v_add_f32_e32 v17, v4, v5
	v_and_b32_e32 v4, 0x7f800000, v17
	v_cmp_ne_u32_e32 vcc, s35, v4
                                        ; implicit-def: $vgpr13
	s_and_saveexec_b64 s[60:61], vcc
	s_xor_b64 s[60:61], exec, s[60:61]
; %bb.253:                              ;   in Loop: Header=BB10_128 Depth=2
	v_bfe_u32 v4, v17, 16, 1
	v_add3_u32 v13, v17, v4, s36
                                        ; implicit-def: $vgpr17
; %bb.254:                              ;   in Loop: Header=BB10_128 Depth=2
	s_andn2_saveexec_b64 s[60:61], s[60:61]
	s_cbranch_execz .LBB10_127
; %bb.255:                              ;   in Loop: Header=BB10_128 Depth=2
	v_or_b32_e32 v4, 0x10000, v17
	v_cmp_eq_u32_sdwa vcc, v17, v60 src0_sel:WORD_0 src1_sel:DWORD
	v_cndmask_b32_e32 v13, v4, v17, vcc
	s_branch .LBB10_127
.LBB10_256:                             ;   in Loop: Header=BB10_49 Depth=1
	s_or_b64 exec, exec, s[58:59]
	buffer_load_dword v58, off, s[0:3], s33 offset:120 ; 4-byte Folded Reload
	buffer_load_dword v59, off, s[0:3], s33 offset:124 ; 4-byte Folded Reload
	;; [unrolled: 1-line block ×8, first 2 shown]
	v_mov_b32_e32 v33, 0xc8
	v_mov_b32_e32 v34, 0x90
.LBB10_257:                             ;   in Loop: Header=BB10_49 Depth=1
	s_or_b64 exec, exec, s[20:21]
	s_waitcnt vmcnt(0)
	v_lshlrev_b32_e32 v22, 12, v0
	v_cmp_ne_u32_e32 vcc, v4, v22
	s_mov_b64 s[60:61], 0
	v_mov_b32_e32 v14, 0
                                        ; implicit-def: $vgpr15
                                        ; implicit-def: $vgpr0
	s_and_saveexec_b64 s[58:59], vcc
	s_cbranch_execz .LBB10_297
; %bb.258:                              ;   in Loop: Header=BB10_49 Depth=1
	v_mov_b32_e32 v37, v4
	v_sub_u32_e32 v1, v4, v22
	buffer_load_dword v4, off, s[0:3], s33 offset:200 ; 4-byte Folded Reload
	v_lshlrev_b32_e32 v0, 6, v43
	v_mov_b32_e32 v9, v8
	s_waitcnt vmcnt(0)
	v_sub_u32_e32 v0, v4, v0
	v_ashrrev_i32_e32 v4, 31, v0
	v_lshrrev_b32_e32 v4, 26, v4
	v_add_u32_e32 v4, v0, v4
	v_ashrrev_i32_e32 v5, 6, v4
	v_and_b32_e32 v4, 0xffffffc0, v4
	v_sub_u32_e32 v23, v0, v4
	v_ashrrev_i32_e32 v4, 31, v1
	v_lshrrev_b32_e32 v4, 22, v4
	v_add_u32_e32 v4, v1, v4
	v_and_b32_e32 v24, 0xfffffc00, v4
	v_lshlrev_b32_e32 v0, 4, v23
	v_sub_u32_e32 v26, v1, v24
	v_lshl_add_u32 v0, v5, 10, v0
	v_ashrrev_i32_e32 v6, 10, v4
	v_cmp_lt_i32_e32 vcc, 15, v26
	v_sub_u32_e32 v27, v1, v0
	v_addc_co_u32_e64 v1, s[20:21], 0, v6, vcc
	v_sub_u32_e32 v25, v1, v5
	v_cmp_lt_i32_e64 s[20:21], 15, v27
	s_mov_b64 s[60:61], exec
	buffer_load_dword v8, off, s[0:3], s33 offset:212 ; 4-byte Folded Reload
	s_and_b64 s[20:21], s[60:61], s[20:21]
	s_mov_b64 exec, s[20:21]
	s_cbranch_execz .LBB10_294
; %bb.259:                              ;   in Loop: Header=BB10_49 Depth=1
	s_trap 2
	ds_read_b64 v[4:5], v0
	v_add_u32_e32 v6, v0, v22
	v_mov_b32_e32 v0, v35
	v_ashrrev_i32_e32 v7, 31, v6
	v_mov_b32_e32 v1, v36
	v_add_co_u32_e64 v0, s[20:21], v6, v0
	v_addc_co_u32_e64 v1, s[20:21], v7, v1, s[20:21]
	s_waitcnt lgkmcnt(0)
	v_add_co_u32_e64 v18, s[20:21], v4, v6
	v_addc_co_u32_e64 v19, s[20:21], v5, v7, s[20:21]
	buffer_load_dword v4, off, s[0:3], s33 offset:128 ; 4-byte Folded Reload
	buffer_load_dword v5, off, s[0:3], s33 offset:132 ; 4-byte Folded Reload
	s_mov_b64 s[62:63], 0
	s_waitcnt vmcnt(1)
	v_add_co_u32_e64 v20, s[20:21], v6, v4
	s_waitcnt vmcnt(0)
	v_addc_co_u32_e64 v21, s[20:21], v7, v5, s[20:21]
	s_branch .LBB10_261
.LBB10_260:                             ;   in Loop: Header=BB10_261 Depth=2
	s_or_b64 exec, exec, s[72:73]
	v_add_co_u32_e64 v0, s[20:21], v0, v8
	v_lshrrev_b32_e32 v4, 16, v14
	v_addc_co_u32_e64 v1, s[20:21], 0, v1, s[20:21]
	v_and_or_b32 v5, v11, s37, v4
	v_lshrrev_b32_e32 v4, 16, v28
	v_lshrrev_b32_e32 v6, 16, v15
	v_lshrrev_b32_e32 v7, 16, v16
	v_add_co_u32_e64 v18, s[20:21], v18, v8
	v_and_or_b32 v4, v10, s37, v4
	v_and_or_b32 v6, v12, s37, v6
	;; [unrolled: 1-line block ×3, first 2 shown]
	v_addc_co_u32_e64 v19, s[20:21], 0, v19, s[20:21]
	global_store_dwordx4 v[20:21], v[4:7], off glc slc
	v_add_co_u32_e64 v20, s[20:21], v20, v8
	v_addc_co_u32_e64 v21, s[20:21], 0, v21, s[20:21]
	v_sub_u32_e32 v27, v27, v8
	v_cmp_gt_i32_e64 s[20:21], 16, v27
	s_or_b64 s[62:63], s[20:21], s[62:63]
	v_sub_u32_e32 v25, v25, v57
	s_andn2_b64 exec, exec, s[62:63]
	s_cbranch_execz .LBB10_293
.LBB10_261:                             ;   Parent Loop BB10_49 Depth=1
                                        ; =>  This Inner Loop Header: Depth=2
	global_load_dwordx4 v[10:13], v[18:19], off glc slc
	global_load_dwordx4 v[14:17], v[0:1], off glc slc
                                        ; implicit-def: $vgpr28
	s_waitcnt vmcnt(1)
	v_lshlrev_b32_e32 v4, 16, v10
	s_waitcnt vmcnt(0)
	v_lshlrev_b32_e32 v5, 16, v14
	v_add_f32_e32 v29, v5, v4
	v_and_b32_e32 v4, 0x7f800000, v29
	v_cmp_ne_u32_e64 s[20:21], s35, v4
	s_and_saveexec_b64 s[72:73], s[20:21]
	s_xor_b64 s[20:21], exec, s[72:73]
; %bb.262:                              ;   in Loop: Header=BB10_261 Depth=2
	v_bfe_u32 v4, v29, 16, 1
	v_add3_u32 v28, v29, v4, s36
                                        ; implicit-def: $vgpr29
; %bb.263:                              ;   in Loop: Header=BB10_261 Depth=2
	s_andn2_saveexec_b64 s[72:73], s[20:21]
; %bb.264:                              ;   in Loop: Header=BB10_261 Depth=2
	v_or_b32_e32 v4, 0x10000, v29
	v_cmp_eq_u32_sdwa s[20:21], v29, v60 src0_sel:WORD_0 src1_sel:DWORD
	v_cndmask_b32_e64 v28, v4, v29, s[20:21]
; %bb.265:                              ;   in Loop: Header=BB10_261 Depth=2
	s_or_b64 exec, exec, s[72:73]
	v_and_b32_e32 v4, 0xffff0000, v10
	v_and_b32_e32 v5, 0xffff0000, v14
	v_add_f32_e32 v14, v5, v4
	v_and_b32_e32 v4, 0x7f800000, v14
	v_cmp_ne_u32_e64 s[20:21], s35, v4
                                        ; implicit-def: $vgpr10
	s_and_saveexec_b64 s[72:73], s[20:21]
	s_xor_b64 s[20:21], exec, s[72:73]
; %bb.266:                              ;   in Loop: Header=BB10_261 Depth=2
	v_bfe_u32 v4, v14, 16, 1
	v_add3_u32 v10, v14, v4, s36
                                        ; implicit-def: $vgpr14
; %bb.267:                              ;   in Loop: Header=BB10_261 Depth=2
	s_andn2_saveexec_b64 s[72:73], s[20:21]
; %bb.268:                              ;   in Loop: Header=BB10_261 Depth=2
	v_or_b32_e32 v4, 0x10000, v14
	v_cmp_eq_u32_sdwa s[20:21], v14, v60 src0_sel:WORD_0 src1_sel:DWORD
	v_cndmask_b32_e64 v10, v4, v14, s[20:21]
; %bb.269:                              ;   in Loop: Header=BB10_261 Depth=2
	s_or_b64 exec, exec, s[72:73]
	v_lshlrev_b32_e32 v4, 16, v11
	v_lshlrev_b32_e32 v5, 16, v15
	v_add_f32_e32 v29, v5, v4
	v_and_b32_e32 v4, 0x7f800000, v29
	v_cmp_ne_u32_e64 s[20:21], s35, v4
                                        ; implicit-def: $vgpr14
	s_and_saveexec_b64 s[72:73], s[20:21]
	s_xor_b64 s[20:21], exec, s[72:73]
; %bb.270:                              ;   in Loop: Header=BB10_261 Depth=2
	v_bfe_u32 v4, v29, 16, 1
	v_add3_u32 v14, v29, v4, s36
                                        ; implicit-def: $vgpr29
; %bb.271:                              ;   in Loop: Header=BB10_261 Depth=2
	s_andn2_saveexec_b64 s[72:73], s[20:21]
; %bb.272:                              ;   in Loop: Header=BB10_261 Depth=2
	v_or_b32_e32 v4, 0x10000, v29
	v_cmp_eq_u32_sdwa s[20:21], v29, v60 src0_sel:WORD_0 src1_sel:DWORD
	v_cndmask_b32_e64 v14, v4, v29, s[20:21]
; %bb.273:                              ;   in Loop: Header=BB10_261 Depth=2
	s_or_b64 exec, exec, s[72:73]
	v_and_b32_e32 v4, 0xffff0000, v15
	v_and_b32_e32 v5, 0xffff0000, v11
	v_add_f32_e32 v15, v4, v5
	v_and_b32_e32 v4, 0x7f800000, v15
	v_cmp_ne_u32_e64 s[20:21], s35, v4
                                        ; implicit-def: $vgpr11
	s_and_saveexec_b64 s[72:73], s[20:21]
	s_xor_b64 s[20:21], exec, s[72:73]
; %bb.274:                              ;   in Loop: Header=BB10_261 Depth=2
	v_bfe_u32 v4, v15, 16, 1
	v_add3_u32 v11, v15, v4, s36
                                        ; implicit-def: $vgpr15
; %bb.275:                              ;   in Loop: Header=BB10_261 Depth=2
	s_andn2_saveexec_b64 s[72:73], s[20:21]
; %bb.276:                              ;   in Loop: Header=BB10_261 Depth=2
	v_or_b32_e32 v4, 0x10000, v15
	v_cmp_eq_u32_sdwa s[20:21], v15, v60 src0_sel:WORD_0 src1_sel:DWORD
	v_cndmask_b32_e64 v11, v4, v15, s[20:21]
; %bb.277:                              ;   in Loop: Header=BB10_261 Depth=2
	s_or_b64 exec, exec, s[72:73]
	v_lshlrev_b32_e32 v4, 16, v12
	v_lshlrev_b32_e32 v5, 16, v16
	v_add_f32_e32 v29, v5, v4
	v_and_b32_e32 v4, 0x7f800000, v29
	v_cmp_ne_u32_e64 s[20:21], s35, v4
                                        ; implicit-def: $vgpr15
	s_and_saveexec_b64 s[72:73], s[20:21]
	s_xor_b64 s[20:21], exec, s[72:73]
; %bb.278:                              ;   in Loop: Header=BB10_261 Depth=2
	v_bfe_u32 v4, v29, 16, 1
	v_add3_u32 v15, v29, v4, s36
                                        ; implicit-def: $vgpr29
; %bb.279:                              ;   in Loop: Header=BB10_261 Depth=2
	s_andn2_saveexec_b64 s[72:73], s[20:21]
; %bb.280:                              ;   in Loop: Header=BB10_261 Depth=2
	v_or_b32_e32 v4, 0x10000, v29
	v_cmp_eq_u32_sdwa s[20:21], v29, v60 src0_sel:WORD_0 src1_sel:DWORD
	v_cndmask_b32_e64 v15, v4, v29, s[20:21]
; %bb.281:                              ;   in Loop: Header=BB10_261 Depth=2
	s_or_b64 exec, exec, s[72:73]
	v_and_b32_e32 v4, 0xffff0000, v16
	v_and_b32_e32 v5, 0xffff0000, v12
	v_add_f32_e32 v16, v4, v5
	v_and_b32_e32 v4, 0x7f800000, v16
	v_cmp_ne_u32_e64 s[20:21], s35, v4
                                        ; implicit-def: $vgpr12
	s_and_saveexec_b64 s[72:73], s[20:21]
	s_xor_b64 s[20:21], exec, s[72:73]
; %bb.282:                              ;   in Loop: Header=BB10_261 Depth=2
	v_bfe_u32 v4, v16, 16, 1
	v_add3_u32 v12, v16, v4, s36
                                        ; implicit-def: $vgpr16
; %bb.283:                              ;   in Loop: Header=BB10_261 Depth=2
	s_andn2_saveexec_b64 s[72:73], s[20:21]
; %bb.284:                              ;   in Loop: Header=BB10_261 Depth=2
	v_or_b32_e32 v4, 0x10000, v16
	v_cmp_eq_u32_sdwa s[20:21], v16, v60 src0_sel:WORD_0 src1_sel:DWORD
	v_cndmask_b32_e64 v12, v4, v16, s[20:21]
; %bb.285:                              ;   in Loop: Header=BB10_261 Depth=2
	s_or_b64 exec, exec, s[72:73]
	v_lshlrev_b32_e32 v4, 16, v13
	v_lshlrev_b32_e32 v5, 16, v17
	v_add_f32_e32 v29, v5, v4
	v_and_b32_e32 v4, 0x7f800000, v29
	v_cmp_ne_u32_e64 s[20:21], s35, v4
                                        ; implicit-def: $vgpr16
	s_and_saveexec_b64 s[72:73], s[20:21]
	s_xor_b64 s[20:21], exec, s[72:73]
; %bb.286:                              ;   in Loop: Header=BB10_261 Depth=2
	v_bfe_u32 v4, v29, 16, 1
	v_add3_u32 v16, v29, v4, s36
                                        ; implicit-def: $vgpr29
; %bb.287:                              ;   in Loop: Header=BB10_261 Depth=2
	s_andn2_saveexec_b64 s[72:73], s[20:21]
; %bb.288:                              ;   in Loop: Header=BB10_261 Depth=2
	v_or_b32_e32 v4, 0x10000, v29
	v_cmp_eq_u32_sdwa s[20:21], v29, v60 src0_sel:WORD_0 src1_sel:DWORD
	v_cndmask_b32_e64 v16, v4, v29, s[20:21]
; %bb.289:                              ;   in Loop: Header=BB10_261 Depth=2
	s_or_b64 exec, exec, s[72:73]
	v_and_b32_e32 v4, 0xffff0000, v17
	v_and_b32_e32 v5, 0xffff0000, v13
	v_add_f32_e32 v17, v4, v5
	v_and_b32_e32 v4, 0x7f800000, v17
	v_cmp_ne_u32_e64 s[20:21], s35, v4
                                        ; implicit-def: $vgpr13
	s_and_saveexec_b64 s[72:73], s[20:21]
	s_xor_b64 s[20:21], exec, s[72:73]
; %bb.290:                              ;   in Loop: Header=BB10_261 Depth=2
	v_bfe_u32 v4, v17, 16, 1
	v_add3_u32 v13, v17, v4, s36
                                        ; implicit-def: $vgpr17
; %bb.291:                              ;   in Loop: Header=BB10_261 Depth=2
	s_andn2_saveexec_b64 s[72:73], s[20:21]
	s_cbranch_execz .LBB10_260
; %bb.292:                              ;   in Loop: Header=BB10_261 Depth=2
	v_or_b32_e32 v4, 0x10000, v17
	v_cmp_eq_u32_sdwa s[20:21], v17, v60 src0_sel:WORD_0 src1_sel:DWORD
	v_cndmask_b32_e64 v13, v4, v17, s[20:21]
	s_branch .LBB10_260
.LBB10_293:                             ;   in Loop: Header=BB10_49 Depth=1
	s_or_b64 exec, exec, s[62:63]
.LBB10_294:                             ;   in Loop: Header=BB10_49 Depth=1
	s_or_b64 exec, exec, s[60:61]
	v_and_b32_e32 v1, 14, v37
	v_cndmask_b32_e32 v4, v26, v1, vcc
	v_mov_b32_e32 v14, 0
	s_mov_b64 s[60:61], 0
	v_cmp_ne_u32_e64 s[20:21], 0, v4
                                        ; implicit-def: $vgpr15
                                        ; implicit-def: $vgpr0
	s_mov_b64 s[62:63], exec
	s_and_b64 s[20:21], s[62:63], s[20:21]
	s_waitcnt vmcnt(0)
	v_mov_b32_e32 v8, v9
	s_mov_b64 exec, s[20:21]
	s_cbranch_execz .LBB10_296
; %bb.295:                              ;   in Loop: Header=BB10_49 Depth=1
	v_sub_u32_e32 v0, v26, v1
	v_cndmask_b32_e32 v0, 0, v0, vcc
	v_cmp_lt_i32_e32 vcc, 0, v25
	v_add3_u32 v14, v24, v22, v0
	v_cndmask_b32_e32 v0, 0, v57, vcc
	v_sub_u32_e32 v0, v0, v25
	v_lshl_add_u32 v15, v0, 6, v23
	v_ashrrev_i32_e32 v0, 31, v15
	v_lshrrev_b32_e32 v0, 26, v0
	v_add_u32_e32 v0, v15, v0
	s_mov_b64 s[60:61], exec
	v_ashrrev_i32_e32 v0, 6, v0
.LBB10_296:                             ;   in Loop: Header=BB10_49 Depth=1
	s_or_b64 exec, exec, s[62:63]
	s_and_b64 s[60:61], s[60:61], exec
.LBB10_297:                             ;   in Loop: Header=BB10_49 Depth=1
	s_or_b64 exec, exec, s[58:59]
	buffer_load_dword v43, off, s[0:3], s33 offset:116 ; 4-byte Folded Reload
	s_and_saveexec_b64 s[20:21], s[60:61]
	s_cbranch_execz .LBB10_374
.LBB10_298:                             ;   in Loop: Header=BB10_49 Depth=1
	v_ashrrev_i32_e32 v1, 31, v4
	v_lshrrev_b32_e32 v1, 21, v1
	v_add_u32_e32 v1, v4, v1
	v_ashrrev_i32_e32 v5, 11, v1
	v_sub_u32_e32 v16, v5, v0
	s_waitcnt vmcnt(0)
	v_ashrrev_i32_e32 v1, 31, v15
	v_cmp_lt_i32_e32 vcc, 0, v16
	v_lshrrev_b32_e32 v1, 26, v1
	s_and_saveexec_b64 s[58:59], vcc
	s_cbranch_execz .LBB10_366
; %bb.299:                              ;   in Loop: Header=BB10_49 Depth=1
	v_mov_b32_e32 v9, v1
	v_add_u32_e32 v1, v15, v1
	v_and_b32_e32 v1, 0x7fffffc0, v1
	v_sub_u32_e32 v1, v15, v1
	v_lshlrev_b32_e32 v1, 1, v1
	v_lshlrev_b32_e32 v0, 11, v0
	v_add3_u32 v6, v1, v14, v0
	buffer_store_dword v5, off, s[0:3], s33 offset:192 ; 4-byte Folded Spill
	buffer_store_dword v4, off, s[0:3], s33 offset:172 ; 4-byte Folded Spill
	s_trap 2
	ds_read_b64 v[4:5], v0
	v_add_co_u32_e32 v0, vcc, v6, v35
	buffer_store_dword v35, off, s[0:3], s33 offset:164 ; 4-byte Folded Spill
	s_nop 0
	buffer_store_dword v36, off, s[0:3], s33 offset:168 ; 4-byte Folded Spill
	v_ashrrev_i32_e32 v7, 31, v6
	s_mov_b64 s[60:61], 0
	v_addc_co_u32_e32 v1, vcc, v7, v36, vcc
	s_waitcnt lgkmcnt(0)
	v_add_co_u32_e32 v10, vcc, v4, v6
	v_addc_co_u32_e32 v11, vcc, v5, v7, vcc
	buffer_load_dword v4, off, s[0:3], s33 offset:128 ; 4-byte Folded Reload
	buffer_load_dword v5, off, s[0:3], s33 offset:132 ; 4-byte Folded Reload
	s_waitcnt vmcnt(1)
	v_add_co_u32_e32 v4, vcc, 0x780, v4
	s_waitcnt vmcnt(0)
	v_addc_co_u32_e32 v5, vcc, 0, v5, vcc
	v_add_co_u32_e32 v12, vcc, v4, v6
	v_addc_co_u32_e32 v13, vcc, v5, v7, vcc
	s_branch .LBB10_301
.LBB10_300:                             ;   in Loop: Header=BB10_301 Depth=2
	s_or_b64 exec, exec, s[62:63]
	v_add_co_u32_e32 v4, vcc, 0xfffff880, v12
	v_addc_co_u32_e32 v5, vcc, -1, v13, vcc
	flat_store_short_d16_hi v[4:5], v20 glc slc
	v_add_co_u32_e32 v4, vcc, 0xfffff900, v12
	v_addc_co_u32_e32 v5, vcc, -1, v13, vcc
	flat_store_short_d16_hi v[4:5], v22 glc slc
	;; [unrolled: 3-line block ×14, first 2 shown]
	v_add_co_u32_e32 v4, vcc, 0xffffff80, v12
	v_addc_co_u32_e32 v5, vcc, -1, v13, vcc
	v_add_co_u32_e32 v0, vcc, v0, v42
	v_addc_co_u32_e32 v1, vcc, 0, v1, vcc
	v_add_co_u32_e32 v10, vcc, v10, v42
	v_addc_co_u32_e32 v11, vcc, 0, v11, vcc
	v_sub_u32_e32 v16, v16, v57
	v_cmp_gt_i32_e32 vcc, 1, v16
	flat_store_short_d16_hi v[4:5], v21 glc slc
	flat_store_short_d16_hi v[12:13], v19 glc slc
	s_or_b64 s[60:61], vcc, s[60:61]
	v_add_co_u32_e32 v12, vcc, v12, v42
	v_addc_co_u32_e32 v13, vcc, 0, v13, vcc
	s_andn2_b64 exec, exec, s[60:61]
	s_cbranch_execz .LBB10_365
.LBB10_301:                             ;   Parent Loop BB10_49 Depth=1
                                        ; =>  This Inner Loop Header: Depth=2
	flat_load_ushort v50, v[0:1] offset:1024 glc slc
	flat_load_ushort v48, v[0:1] offset:1152 glc slc
	;; [unrolled: 1-line block ×15, first 2 shown]
	flat_load_ushort v4, v[0:1] glc slc
	flat_load_ushort v17, v[10:11] offset:128 glc slc
	flat_load_ushort v62, v[10:11] offset:256 glc slc
	;; [unrolled: 1-line block ×7, first 2 shown]
	flat_load_ushort v5, v[10:11] glc slc
	flat_load_ushort v52, v[10:11] offset:1024 glc slc
	flat_load_ushort v51, v[10:11] offset:1152 glc slc
	;; [unrolled: 1-line block ×8, first 2 shown]
                                        ; implicit-def: $vgpr20
	s_waitcnt vmcnt(0) lgkmcnt(0)
	v_lshlrev_b32_e32 v4, 16, v4
	v_lshlrev_b32_e32 v5, 16, v5
	v_add_f32_e32 v18, v4, v5
	v_and_b32_e32 v4, 0x7f800000, v18
	v_cmp_ne_u32_e32 vcc, s35, v4
	s_and_saveexec_b64 s[62:63], vcc
	s_xor_b64 s[62:63], exec, s[62:63]
; %bb.302:                              ;   in Loop: Header=BB10_301 Depth=2
	v_bfe_u32 v4, v18, 16, 1
	v_add3_u32 v20, v18, v4, s36
                                        ; implicit-def: $vgpr18
; %bb.303:                              ;   in Loop: Header=BB10_301 Depth=2
	s_andn2_saveexec_b64 s[62:63], s[62:63]
; %bb.304:                              ;   in Loop: Header=BB10_301 Depth=2
	v_or_b32_e32 v4, 0x10000, v18
	v_cmp_eq_u32_sdwa vcc, v18, v60 src0_sel:WORD_0 src1_sel:DWORD
	v_cndmask_b32_e32 v20, v4, v18, vcc
; %bb.305:                              ;   in Loop: Header=BB10_301 Depth=2
	s_or_b64 exec, exec, s[62:63]
	v_lshlrev_b32_e32 v4, 16, v22
	v_lshlrev_b32_e32 v5, 16, v17
	v_add_f32_e32 v17, v4, v5
	v_and_b32_e32 v4, 0x7f800000, v17
	v_cmp_ne_u32_e32 vcc, s35, v4
                                        ; implicit-def: $vgpr22
	s_and_saveexec_b64 s[62:63], vcc
	s_xor_b64 s[62:63], exec, s[62:63]
; %bb.306:                              ;   in Loop: Header=BB10_301 Depth=2
	v_bfe_u32 v4, v17, 16, 1
	v_add3_u32 v22, v17, v4, s36
                                        ; implicit-def: $vgpr17
; %bb.307:                              ;   in Loop: Header=BB10_301 Depth=2
	s_andn2_saveexec_b64 s[62:63], s[62:63]
; %bb.308:                              ;   in Loop: Header=BB10_301 Depth=2
	v_or_b32_e32 v4, 0x10000, v17
	v_cmp_eq_u32_sdwa vcc, v17, v60 src0_sel:WORD_0 src1_sel:DWORD
	v_cndmask_b32_e32 v22, v4, v17, vcc
; %bb.309:                              ;   in Loop: Header=BB10_301 Depth=2
	s_or_b64 exec, exec, s[62:63]
	v_lshlrev_b32_e32 v4, 16, v24
	v_lshlrev_b32_e32 v5, 16, v62
	v_add_f32_e32 v17, v4, v5
	v_and_b32_e32 v4, 0x7f800000, v17
	v_cmp_ne_u32_e32 vcc, s35, v4
                                        ; implicit-def: $vgpr24
	s_and_saveexec_b64 s[62:63], vcc
	s_xor_b64 s[62:63], exec, s[62:63]
; %bb.310:                              ;   in Loop: Header=BB10_301 Depth=2
	v_bfe_u32 v4, v17, 16, 1
	v_add3_u32 v24, v17, v4, s36
                                        ; implicit-def: $vgpr17
; %bb.311:                              ;   in Loop: Header=BB10_301 Depth=2
	s_andn2_saveexec_b64 s[62:63], s[62:63]
; %bb.312:                              ;   in Loop: Header=BB10_301 Depth=2
	v_or_b32_e32 v4, 0x10000, v17
	v_cmp_eq_u32_sdwa vcc, v17, v60 src0_sel:WORD_0 src1_sel:DWORD
	v_cndmask_b32_e32 v24, v4, v17, vcc
; %bb.313:                              ;   in Loop: Header=BB10_301 Depth=2
	s_or_b64 exec, exec, s[62:63]
	v_lshlrev_b32_e32 v4, 16, v27
	v_lshlrev_b32_e32 v5, 16, v61
	v_add_f32_e32 v17, v4, v5
	v_and_b32_e32 v4, 0x7f800000, v17
	v_cmp_ne_u32_e32 vcc, s35, v4
                                        ; implicit-def: $vgpr27
	s_and_saveexec_b64 s[62:63], vcc
	s_xor_b64 s[62:63], exec, s[62:63]
; %bb.314:                              ;   in Loop: Header=BB10_301 Depth=2
	v_bfe_u32 v4, v17, 16, 1
	v_add3_u32 v27, v17, v4, s36
                                        ; implicit-def: $vgpr17
; %bb.315:                              ;   in Loop: Header=BB10_301 Depth=2
	s_andn2_saveexec_b64 s[62:63], s[62:63]
; %bb.316:                              ;   in Loop: Header=BB10_301 Depth=2
	v_or_b32_e32 v4, 0x10000, v17
	v_cmp_eq_u32_sdwa vcc, v17, v60 src0_sel:WORD_0 src1_sel:DWORD
	v_cndmask_b32_e32 v27, v4, v17, vcc
; %bb.317:                              ;   in Loop: Header=BB10_301 Depth=2
	s_or_b64 exec, exec, s[62:63]
	v_lshlrev_b32_e32 v4, 16, v32
	v_lshlrev_b32_e32 v5, 16, v59
	v_add_f32_e32 v17, v4, v5
	v_and_b32_e32 v4, 0x7f800000, v17
	v_cmp_ne_u32_e32 vcc, s35, v4
                                        ; implicit-def: $vgpr32
	s_and_saveexec_b64 s[62:63], vcc
	s_xor_b64 s[62:63], exec, s[62:63]
; %bb.318:                              ;   in Loop: Header=BB10_301 Depth=2
	v_bfe_u32 v4, v17, 16, 1
	v_add3_u32 v32, v17, v4, s36
                                        ; implicit-def: $vgpr17
; %bb.319:                              ;   in Loop: Header=BB10_301 Depth=2
	s_andn2_saveexec_b64 s[62:63], s[62:63]
; %bb.320:                              ;   in Loop: Header=BB10_301 Depth=2
	v_or_b32_e32 v4, 0x10000, v17
	v_cmp_eq_u32_sdwa vcc, v17, v60 src0_sel:WORD_0 src1_sel:DWORD
	v_cndmask_b32_e32 v32, v4, v17, vcc
; %bb.321:                              ;   in Loop: Header=BB10_301 Depth=2
	s_or_b64 exec, exec, s[62:63]
	v_lshlrev_b32_e32 v4, 16, v35
	v_lshlrev_b32_e32 v5, 16, v58
	v_add_f32_e32 v17, v4, v5
	v_and_b32_e32 v4, 0x7f800000, v17
	v_cmp_ne_u32_e32 vcc, s35, v4
                                        ; implicit-def: $vgpr35
	s_and_saveexec_b64 s[62:63], vcc
	s_xor_b64 s[62:63], exec, s[62:63]
; %bb.322:                              ;   in Loop: Header=BB10_301 Depth=2
	v_bfe_u32 v4, v17, 16, 1
	v_add3_u32 v35, v17, v4, s36
                                        ; implicit-def: $vgpr17
; %bb.323:                              ;   in Loop: Header=BB10_301 Depth=2
	s_andn2_saveexec_b64 s[62:63], s[62:63]
; %bb.324:                              ;   in Loop: Header=BB10_301 Depth=2
	v_or_b32_e32 v4, 0x10000, v17
	v_cmp_eq_u32_sdwa vcc, v17, v60 src0_sel:WORD_0 src1_sel:DWORD
	v_cndmask_b32_e32 v35, v4, v17, vcc
; %bb.325:                              ;   in Loop: Header=BB10_301 Depth=2
	s_or_b64 exec, exec, s[62:63]
	v_lshlrev_b32_e32 v4, 16, v36
	v_lshlrev_b32_e32 v5, 16, v43
	v_add_f32_e32 v17, v4, v5
	v_and_b32_e32 v4, 0x7f800000, v17
	v_cmp_ne_u32_e32 vcc, s35, v4
                                        ; implicit-def: $vgpr36
	s_and_saveexec_b64 s[62:63], vcc
	s_xor_b64 s[62:63], exec, s[62:63]
; %bb.326:                              ;   in Loop: Header=BB10_301 Depth=2
	v_bfe_u32 v4, v17, 16, 1
	v_add3_u32 v36, v17, v4, s36
                                        ; implicit-def: $vgpr17
; %bb.327:                              ;   in Loop: Header=BB10_301 Depth=2
	s_andn2_saveexec_b64 s[62:63], s[62:63]
; %bb.328:                              ;   in Loop: Header=BB10_301 Depth=2
	v_or_b32_e32 v4, 0x10000, v17
	v_cmp_eq_u32_sdwa vcc, v17, v60 src0_sel:WORD_0 src1_sel:DWORD
	v_cndmask_b32_e32 v36, v4, v17, vcc
; %bb.329:                              ;   in Loop: Header=BB10_301 Depth=2
	s_or_b64 exec, exec, s[62:63]
	v_lshlrev_b32_e32 v4, 16, v39
	v_lshlrev_b32_e32 v5, 16, v53
	v_add_f32_e32 v17, v4, v5
	v_and_b32_e32 v4, 0x7f800000, v17
	v_cmp_ne_u32_e32 vcc, s35, v4
                                        ; implicit-def: $vgpr39
	s_and_saveexec_b64 s[62:63], vcc
	s_xor_b64 s[62:63], exec, s[62:63]
; %bb.330:                              ;   in Loop: Header=BB10_301 Depth=2
	v_bfe_u32 v4, v17, 16, 1
	v_add3_u32 v39, v17, v4, s36
                                        ; implicit-def: $vgpr17
; %bb.331:                              ;   in Loop: Header=BB10_301 Depth=2
	s_andn2_saveexec_b64 s[62:63], s[62:63]
; %bb.332:                              ;   in Loop: Header=BB10_301 Depth=2
	v_or_b32_e32 v4, 0x10000, v17
	v_cmp_eq_u32_sdwa vcc, v17, v60 src0_sel:WORD_0 src1_sel:DWORD
	v_cndmask_b32_e32 v39, v4, v17, vcc
; %bb.333:                              ;   in Loop: Header=BB10_301 Depth=2
	s_or_b64 exec, exec, s[62:63]
	v_lshlrev_b32_e32 v4, 16, v50
	v_lshlrev_b32_e32 v5, 16, v52
	v_add_f32_e32 v17, v4, v5
	v_and_b32_e32 v4, 0x7f800000, v17
	v_cmp_ne_u32_e32 vcc, s35, v4
                                        ; implicit-def: $vgpr50
	s_and_saveexec_b64 s[62:63], vcc
	s_xor_b64 s[62:63], exec, s[62:63]
; %bb.334:                              ;   in Loop: Header=BB10_301 Depth=2
	v_bfe_u32 v4, v17, 16, 1
	v_add3_u32 v50, v17, v4, s36
                                        ; implicit-def: $vgpr17
; %bb.335:                              ;   in Loop: Header=BB10_301 Depth=2
	s_andn2_saveexec_b64 s[62:63], s[62:63]
; %bb.336:                              ;   in Loop: Header=BB10_301 Depth=2
	v_or_b32_e32 v4, 0x10000, v17
	v_cmp_eq_u32_sdwa vcc, v17, v60 src0_sel:WORD_0 src1_sel:DWORD
	v_cndmask_b32_e32 v50, v4, v17, vcc
; %bb.337:                              ;   in Loop: Header=BB10_301 Depth=2
	s_or_b64 exec, exec, s[62:63]
	v_lshlrev_b32_e32 v4, 16, v48
	v_lshlrev_b32_e32 v5, 16, v51
	v_add_f32_e32 v17, v4, v5
	v_and_b32_e32 v4, 0x7f800000, v17
	v_cmp_ne_u32_e32 vcc, s35, v4
                                        ; implicit-def: $vgpr48
	s_and_saveexec_b64 s[62:63], vcc
	s_xor_b64 s[62:63], exec, s[62:63]
; %bb.338:                              ;   in Loop: Header=BB10_301 Depth=2
	v_bfe_u32 v4, v17, 16, 1
	v_add3_u32 v48, v17, v4, s36
                                        ; implicit-def: $vgpr17
; %bb.339:                              ;   in Loop: Header=BB10_301 Depth=2
	s_andn2_saveexec_b64 s[62:63], s[62:63]
; %bb.340:                              ;   in Loop: Header=BB10_301 Depth=2
	v_or_b32_e32 v4, 0x10000, v17
	v_cmp_eq_u32_sdwa vcc, v17, v60 src0_sel:WORD_0 src1_sel:DWORD
	v_cndmask_b32_e32 v48, v4, v17, vcc
; %bb.341:                              ;   in Loop: Header=BB10_301 Depth=2
	s_or_b64 exec, exec, s[62:63]
	v_lshlrev_b32_e32 v4, 16, v37
	v_lshlrev_b32_e32 v5, 16, v49
	v_add_f32_e32 v17, v4, v5
	v_and_b32_e32 v4, 0x7f800000, v17
	v_cmp_ne_u32_e32 vcc, s35, v4
                                        ; implicit-def: $vgpr37
	s_and_saveexec_b64 s[62:63], vcc
	s_xor_b64 s[62:63], exec, s[62:63]
; %bb.342:                              ;   in Loop: Header=BB10_301 Depth=2
	v_bfe_u32 v4, v17, 16, 1
	v_add3_u32 v37, v17, v4, s36
                                        ; implicit-def: $vgpr17
; %bb.343:                              ;   in Loop: Header=BB10_301 Depth=2
	s_andn2_saveexec_b64 s[62:63], s[62:63]
; %bb.344:                              ;   in Loop: Header=BB10_301 Depth=2
	v_or_b32_e32 v4, 0x10000, v17
	v_cmp_eq_u32_sdwa vcc, v17, v60 src0_sel:WORD_0 src1_sel:DWORD
	v_cndmask_b32_e32 v37, v4, v17, vcc
; %bb.345:                              ;   in Loop: Header=BB10_301 Depth=2
	s_or_b64 exec, exec, s[62:63]
	v_lshlrev_b32_e32 v4, 16, v33
	v_lshlrev_b32_e32 v5, 16, v38
	v_add_f32_e32 v17, v4, v5
	v_and_b32_e32 v4, 0x7f800000, v17
	v_cmp_ne_u32_e32 vcc, s35, v4
                                        ; implicit-def: $vgpr33
	s_and_saveexec_b64 s[62:63], vcc
	s_xor_b64 s[62:63], exec, s[62:63]
; %bb.346:                              ;   in Loop: Header=BB10_301 Depth=2
	v_bfe_u32 v4, v17, 16, 1
	v_add3_u32 v33, v17, v4, s36
                                        ; implicit-def: $vgpr17
; %bb.347:                              ;   in Loop: Header=BB10_301 Depth=2
	s_andn2_saveexec_b64 s[62:63], s[62:63]
; %bb.348:                              ;   in Loop: Header=BB10_301 Depth=2
	v_or_b32_e32 v4, 0x10000, v17
	v_cmp_eq_u32_sdwa vcc, v17, v60 src0_sel:WORD_0 src1_sel:DWORD
	v_cndmask_b32_e32 v33, v4, v17, vcc
; %bb.349:                              ;   in Loop: Header=BB10_301 Depth=2
	s_or_b64 exec, exec, s[62:63]
	v_lshlrev_b32_e32 v4, 16, v28
	v_lshlrev_b32_e32 v5, 16, v34
	v_add_f32_e32 v17, v4, v5
	v_and_b32_e32 v4, 0x7f800000, v17
	v_cmp_ne_u32_e32 vcc, s35, v4
                                        ; implicit-def: $vgpr28
	s_and_saveexec_b64 s[62:63], vcc
	s_xor_b64 s[62:63], exec, s[62:63]
; %bb.350:                              ;   in Loop: Header=BB10_301 Depth=2
	v_bfe_u32 v4, v17, 16, 1
	v_add3_u32 v28, v17, v4, s36
                                        ; implicit-def: $vgpr17
; %bb.351:                              ;   in Loop: Header=BB10_301 Depth=2
	s_andn2_saveexec_b64 s[62:63], s[62:63]
; %bb.352:                              ;   in Loop: Header=BB10_301 Depth=2
	v_or_b32_e32 v4, 0x10000, v17
	v_cmp_eq_u32_sdwa vcc, v17, v60 src0_sel:WORD_0 src1_sel:DWORD
	v_cndmask_b32_e32 v28, v4, v17, vcc
; %bb.353:                              ;   in Loop: Header=BB10_301 Depth=2
	s_or_b64 exec, exec, s[62:63]
	v_lshlrev_b32_e32 v4, 16, v25
	v_lshlrev_b32_e32 v5, 16, v29
	v_add_f32_e32 v17, v4, v5
	v_and_b32_e32 v4, 0x7f800000, v17
	v_cmp_ne_u32_e32 vcc, s35, v4
                                        ; implicit-def: $vgpr25
	s_and_saveexec_b64 s[62:63], vcc
	s_xor_b64 s[62:63], exec, s[62:63]
; %bb.354:                              ;   in Loop: Header=BB10_301 Depth=2
	v_bfe_u32 v4, v17, 16, 1
	v_add3_u32 v25, v17, v4, s36
                                        ; implicit-def: $vgpr17
; %bb.355:                              ;   in Loop: Header=BB10_301 Depth=2
	s_andn2_saveexec_b64 s[62:63], s[62:63]
; %bb.356:                              ;   in Loop: Header=BB10_301 Depth=2
	v_or_b32_e32 v4, 0x10000, v17
	v_cmp_eq_u32_sdwa vcc, v17, v60 src0_sel:WORD_0 src1_sel:DWORD
	v_cndmask_b32_e32 v25, v4, v17, vcc
; %bb.357:                              ;   in Loop: Header=BB10_301 Depth=2
	s_or_b64 exec, exec, s[62:63]
	v_lshlrev_b32_e32 v4, 16, v21
	v_lshlrev_b32_e32 v5, 16, v26
	v_add_f32_e32 v17, v4, v5
	v_and_b32_e32 v4, 0x7f800000, v17
	v_cmp_ne_u32_e32 vcc, s35, v4
                                        ; implicit-def: $vgpr21
	s_and_saveexec_b64 s[62:63], vcc
	s_xor_b64 s[62:63], exec, s[62:63]
; %bb.358:                              ;   in Loop: Header=BB10_301 Depth=2
	v_bfe_u32 v4, v17, 16, 1
	v_add3_u32 v21, v17, v4, s36
                                        ; implicit-def: $vgpr17
; %bb.359:                              ;   in Loop: Header=BB10_301 Depth=2
	s_andn2_saveexec_b64 s[62:63], s[62:63]
; %bb.360:                              ;   in Loop: Header=BB10_301 Depth=2
	v_or_b32_e32 v4, 0x10000, v17
	v_cmp_eq_u32_sdwa vcc, v17, v60 src0_sel:WORD_0 src1_sel:DWORD
	v_cndmask_b32_e32 v21, v4, v17, vcc
; %bb.361:                              ;   in Loop: Header=BB10_301 Depth=2
	s_or_b64 exec, exec, s[62:63]
	v_lshlrev_b32_e32 v4, 16, v19
	v_lshlrev_b32_e32 v5, 16, v23
	v_add_f32_e32 v17, v4, v5
	v_and_b32_e32 v4, 0x7f800000, v17
	v_cmp_ne_u32_e32 vcc, s35, v4
                                        ; implicit-def: $vgpr19
	s_and_saveexec_b64 s[62:63], vcc
	s_xor_b64 s[62:63], exec, s[62:63]
; %bb.362:                              ;   in Loop: Header=BB10_301 Depth=2
	v_bfe_u32 v4, v17, 16, 1
	v_add3_u32 v19, v17, v4, s36
                                        ; implicit-def: $vgpr17
; %bb.363:                              ;   in Loop: Header=BB10_301 Depth=2
	s_andn2_saveexec_b64 s[62:63], s[62:63]
	s_cbranch_execz .LBB10_300
; %bb.364:                              ;   in Loop: Header=BB10_301 Depth=2
	v_or_b32_e32 v4, 0x10000, v17
	v_cmp_eq_u32_sdwa vcc, v17, v60 src0_sel:WORD_0 src1_sel:DWORD
	v_cndmask_b32_e32 v19, v4, v17, vcc
	s_branch .LBB10_300
.LBB10_365:                             ;   in Loop: Header=BB10_49 Depth=1
	s_or_b64 exec, exec, s[60:61]
	buffer_load_dword v58, off, s[0:3], s33 offset:120 ; 4-byte Folded Reload
	buffer_load_dword v59, off, s[0:3], s33 offset:124 ; 4-byte Folded Reload
	;; [unrolled: 1-line block ×8, first 2 shown]
	v_mov_b32_e32 v33, 0xc8
	v_mov_b32_e32 v34, 0x90
	;; [unrolled: 1-line block ×3, first 2 shown]
.LBB10_366:                             ;   in Loop: Header=BB10_49 Depth=1
	s_or_b64 exec, exec, s[58:59]
	s_waitcnt vmcnt(0)
	v_lshlrev_b32_e32 v0, 11, v5
	v_cmp_ne_u32_e32 vcc, v4, v0
	s_and_b64 exec, exec, vcc
	s_cbranch_execz .LBB10_374
; %bb.367:                              ;   in Loop: Header=BB10_49 Depth=1
	v_add_u32_e32 v1, v15, v1
	v_and_b32_e32 v1, 0xffffffc0, v1
	v_sub_u32_e32 v1, v15, v1
	v_mov_b32_e32 v7, v4
	v_lshlrev_b32_e32 v4, 6, v16
	v_sub_u32_e32 v1, v1, v4
	v_ashrrev_i32_e32 v4, 31, v1
	v_lshrrev_b32_e32 v4, 26, v4
	v_add_u32_e32 v4, v1, v4
	v_and_b32_e32 v5, 0x7fffffc0, v4
	v_sub_u32_e32 v1, v1, v5
	v_lshlrev_b32_e32 v4, 1, v4
	v_and_b32_e32 v4, 0xffffff80, v4
	v_lshlrev_b32_e32 v1, 1, v1
	v_add3_u32 v0, v4, v1, v0
	v_mov_b32_e32 v5, v35
	v_sub_u32_e32 v15, v7, v0
	v_mov_b32_e32 v6, v36
	v_cmp_lt_i32_e32 vcc, 1, v15
	s_and_b64 exec, exec, vcc
	s_cbranch_execz .LBB10_374
; %bb.368:                              ;   in Loop: Header=BB10_49 Depth=1
	v_mov_b32_e32 v10, v6
	v_mov_b32_e32 v9, v5
	s_trap 2
	ds_read_b64 v[4:5], v0
	v_add_u32_e32 v6, v0, v14
	v_ashrrev_i32_e32 v7, 31, v6
	v_add_co_u32_e32 v0, vcc, v6, v9
	v_addc_co_u32_e32 v1, vcc, v7, v10, vcc
	s_waitcnt lgkmcnt(0)
	v_add_co_u32_e32 v10, vcc, v4, v6
	v_addc_co_u32_e32 v11, vcc, v5, v7, vcc
	buffer_load_dword v4, off, s[0:3], s33 offset:128 ; 4-byte Folded Reload
	buffer_load_dword v5, off, s[0:3], s33 offset:132 ; 4-byte Folded Reload
	s_mov_b64 s[58:59], 0
	s_waitcnt vmcnt(1)
	v_add_co_u32_e32 v12, vcc, v6, v4
	s_waitcnt vmcnt(0)
	v_addc_co_u32_e32 v13, vcc, v7, v5, vcc
	s_branch .LBB10_370
.LBB10_369:                             ;   in Loop: Header=BB10_370 Depth=2
	s_or_b64 exec, exec, s[60:61]
	v_add_co_u32_e32 v0, vcc, v0, v30
	v_addc_co_u32_e32 v1, vcc, 0, v1, vcc
	v_add_co_u32_e32 v10, vcc, v10, v30
	v_addc_co_u32_e32 v11, vcc, 0, v11, vcc
	v_sub_u32_e32 v15, v15, v30
	v_cmp_gt_i32_e32 vcc, 2, v15
	flat_store_short_d16_hi v[12:13], v16 glc slc
	s_or_b64 s[58:59], vcc, s[58:59]
	v_add_co_u32_e32 v12, vcc, v12, v30
	v_addc_co_u32_e32 v13, vcc, 0, v13, vcc
	s_andn2_b64 exec, exec, s[58:59]
	s_cbranch_execz .LBB10_374
.LBB10_370:                             ;   Parent Loop BB10_49 Depth=1
                                        ; =>  This Inner Loop Header: Depth=2
	flat_load_ushort v4, v[10:11] glc slc
	flat_load_ushort v5, v[0:1] glc slc
                                        ; implicit-def: $vgpr16
	s_waitcnt vmcnt(0) lgkmcnt(0)
	v_lshlrev_b32_e32 v4, 16, v4
	v_lshlrev_b32_e32 v5, 16, v5
	v_add_f32_e32 v14, v5, v4
	v_and_b32_e32 v4, 0x7f800000, v14
	v_cmp_ne_u32_e32 vcc, s35, v4
	s_and_saveexec_b64 s[60:61], vcc
	s_xor_b64 s[60:61], exec, s[60:61]
; %bb.371:                              ;   in Loop: Header=BB10_370 Depth=2
	v_bfe_u32 v4, v14, 16, 1
	v_add3_u32 v16, v14, v4, s36
                                        ; implicit-def: $vgpr14
; %bb.372:                              ;   in Loop: Header=BB10_370 Depth=2
	s_andn2_saveexec_b64 s[60:61], s[60:61]
	s_cbranch_execz .LBB10_369
; %bb.373:                              ;   in Loop: Header=BB10_370 Depth=2
	v_or_b32_e32 v4, 0x10000, v14
	v_cmp_eq_u32_sdwa vcc, v14, v60 src0_sel:WORD_0 src1_sel:DWORD
	v_cndmask_b32_e32 v16, v4, v14, vcc
	s_branch .LBB10_369
.LBB10_374:                             ;   in Loop: Header=BB10_49 Depth=1
	s_or_b64 exec, exec, s[20:21]
	v_cmp_ne_u32_e64 s[20:21], 0, v8
	s_and_saveexec_b64 s[58:59], s[10:11]
	s_cbranch_execz .LBB10_393
.LBB10_375:                             ;   in Loop: Header=BB10_49 Depth=1
	s_and_saveexec_b64 s[60:61], s[40:41]
	s_xor_b64 s[60:61], exec, s[60:61]
	s_cbranch_execz .LBB10_390
; %bb.376:                              ;   in Loop: Header=BB10_49 Depth=1
	s_and_saveexec_b64 s[62:63], s[12:13]
	s_cbranch_execz .LBB10_389
; %bb.377:                              ;   in Loop: Header=BB10_49 Depth=1
	s_mov_b64 s[74:75], exec
	v_mbcnt_lo_u32_b32 v0, s74, 0
	v_mbcnt_hi_u32_b32 v0, s75, v0
	v_cmp_eq_u32_e32 vcc, 0, v0
	s_waitcnt vmcnt(0) lgkmcnt(0)
	buffer_wbinvl1_vol
	s_and_saveexec_b64 s[72:73], vcc
	s_cbranch_execz .LBB10_379
; %bb.378:                              ;   in Loop: Header=BB10_49 Depth=1
	s_bcnt1_i32_b64 s74, s[74:75]
	v_mov_b32_e32 v0, s74
	v_mov_b32_e32 v1, v60
	ds_add_u64 v0, v[0:1]
	s_trap 2
.LBB10_379:                             ;   in Loop: Header=BB10_49 Depth=1
	s_or_b64 exec, exec, s[72:73]
	s_trap 2
	ds_read_b64 v[0:1], v0
	s_waitcnt lgkmcnt(0)
	v_mov_b32_e32 v4, v44
	v_mov_b32_e32 v5, v45
	v_add_co_u32_e32 v4, vcc, v4, v57
	v_addc_co_u32_e32 v5, vcc, 0, v5, vcc
	v_mov_b32_e32 v45, v5
	v_cmp_lt_u64_e32 vcc, v[0:1], v[4:5]
	v_mov_b32_e32 v44, v4
	s_and_saveexec_b64 s[72:73], vcc
	s_cbranch_execz .LBB10_388
; %bb.380:                              ;   in Loop: Header=BB10_49 Depth=1
	s_mov_b32 s94, 0
	s_mov_b64 s[74:75], 0
                                        ; implicit-def: $sgpr76_sgpr77
                                        ; implicit-def: $sgpr78_sgpr79
	s_branch .LBB10_382
.LBB10_381:                             ;   in Loop: Header=BB10_382 Depth=2
	s_or_b64 exec, exec, s[90:91]
	s_and_b64 s[88:89], exec, s[92:93]
	s_or_b64 s[74:75], s[88:89], s[74:75]
	s_andn2_b64 s[76:77], s[76:77], exec
	s_and_b64 s[88:89], s[78:79], exec
	s_or_b64 s[76:77], s[76:77], s[88:89]
	s_andn2_b64 exec, exec, s[74:75]
	s_cbranch_execz .LBB10_386
.LBB10_382:                             ;   Parent Loop BB10_49 Depth=1
                                        ; =>  This Inner Loop Header: Depth=2
	s_add_i32 s94, s94, 1
	s_cmpk_lg_i32 s94, 0x2710
	s_cselect_b64 s[88:89], -1, 0
	s_and_b64 vcc, exec, s[88:89]
	s_cbranch_vccz .LBB10_384
; %bb.383:                              ;   in Loop: Header=BB10_382 Depth=2
	s_mov_b64 s[92:93], -1
	s_or_b64 s[78:79], s[78:79], exec
	s_and_saveexec_b64 s[90:91], s[88:89]
	s_cbranch_execz .LBB10_381
	s_branch .LBB10_385
.LBB10_384:                             ;   in Loop: Header=BB10_382 Depth=2
	s_trap 2
	ds_read_b64 v[0:1], v0
	s_andn2_b64 s[88:89], s[88:89], exec
	s_mov_b32 s94, 0
	s_waitcnt lgkmcnt(0)
	flat_load_dword v0, v[0:1] glc
	s_waitcnt vmcnt(0) lgkmcnt(0)
	buffer_wbinvl1_vol
	v_cmp_eq_u32_e32 vcc, 0, v0
	s_and_b64 s[90:91], vcc, exec
	s_or_b64 s[88:89], s[88:89], s[90:91]
	s_mov_b64 s[92:93], -1
	s_or_b64 s[78:79], s[78:79], exec
	s_and_saveexec_b64 s[90:91], s[88:89]
	s_cbranch_execz .LBB10_381
.LBB10_385:                             ;   in Loop: Header=BB10_382 Depth=2
	s_sleep 1
	s_trap 2
	ds_read_b64 v[0:1], v0
	s_waitcnt lgkmcnt(0)
	s_andn2_b64 s[78:79], s[78:79], exec
	v_cmp_ge_u64_e32 vcc, v[0:1], v[44:45]
	s_orn2_b64 s[92:93], vcc, exec
	s_branch .LBB10_381
.LBB10_386:                             ;   in Loop: Header=BB10_49 Depth=1
	s_or_b64 exec, exec, s[74:75]
	s_and_saveexec_b64 s[74:75], s[76:77]
	s_xor_b64 s[74:75], exec, s[74:75]
	s_cbranch_execz .LBB10_388
; %bb.387:                              ;   in Loop: Header=BB10_49 Depth=1
	v_mov_b32_e32 v0, 1
	ds_write_b32 v0, v0
	s_trap 2
.LBB10_388:                             ;   in Loop: Header=BB10_49 Depth=1
	s_or_b64 exec, exec, s[72:73]
	;;#ASMSTART
	s_wakeup
	;;#ASMEND
.LBB10_389:                             ;   in Loop: Header=BB10_49 Depth=1
	s_or_b64 exec, exec, s[62:63]
.LBB10_390:                             ;   in Loop: Header=BB10_49 Depth=1
	s_andn2_saveexec_b64 s[60:61], s[60:61]
	s_cbranch_execz .LBB10_392
; %bb.391:                              ;   in Loop: Header=BB10_49 Depth=1
	s_waitcnt vmcnt(0) lgkmcnt(0)
	buffer_wbinvl1_vol
	s_barrier
.LBB10_392:                             ;   in Loop: Header=BB10_49 Depth=1
	s_or_b64 exec, exec, s[60:61]
.LBB10_393:                             ;   in Loop: Header=BB10_49 Depth=1
	s_or_b64 exec, exec, s[58:59]
	v_and_b32_e32 v0, 16, v56
	v_cmp_ne_u32_e32 vcc, 0, v0
	s_and_b64 s[58:59], vcc, s[20:21]
	s_and_saveexec_b64 s[20:21], s[58:59]
	s_cbranch_execz .LBB10_395
; %bb.394:                              ;   in Loop: Header=BB10_49 Depth=1
	s_waitcnt vmcnt(0) lgkmcnt(0)
	buffer_wbinvl1_vol
.LBB10_395:                             ;   in Loop: Header=BB10_49 Depth=1
	s_or_b64 exec, exec, s[20:21]
	v_cmp_ne_u32_e32 vcc, 0, v0
	s_xor_b64 s[20:21], s[18:19], -1
	s_and_b64 s[58:59], vcc, s[20:21]
	s_and_saveexec_b64 s[20:21], s[58:59]
	s_cbranch_execz .LBB10_397
; %bb.396:                              ;   in Loop: Header=BB10_49 Depth=1
	buffer_load_dword v0, off, s[0:3], s33 offset:108 ; 4-byte Folded Reload
	buffer_load_dword v1, off, s[0:3], s33 offset:112 ; 4-byte Folded Reload
	v_mov_b32_e32 v4, 1
	s_waitcnt vmcnt(0)
	flat_store_dword v[0:1], v4
.LBB10_397:                             ;   in Loop: Header=BB10_49 Depth=1
	s_or_b64 exec, exec, s[20:21]
	v_and_b32_e32 v0, 48, v56
	v_cmp_ne_u32_e32 vcc, 0, v0
	s_and_saveexec_b64 s[20:21], vcc
	s_cbranch_execz .LBB10_399
; %bb.398:                              ;   in Loop: Header=BB10_49 Depth=1
	buffer_load_dword v4, off, s[0:3], s33 offset:60 ; 4-byte Folded Reload
	buffer_load_dword v5, off, s[0:3], s33 offset:64 ; 4-byte Folded Reload
	;; [unrolled: 1-line block ×4, first 2 shown]
	s_waitcnt vmcnt(0)
	v_add_co_u32_e32 v6, vcc, 1, v6
	v_addc_co_u32_e32 v7, vcc, 0, v7, vcc
	buffer_store_dword v4, off, s[0:3], s33 offset:60 ; 4-byte Folded Spill
	s_nop 0
	buffer_store_dword v5, off, s[0:3], s33 offset:64 ; 4-byte Folded Spill
	buffer_store_dword v6, off, s[0:3], s33 offset:68 ; 4-byte Folded Spill
	;; [unrolled: 1-line block ×3, first 2 shown]
	flat_store_dwordx2 v[40:41], v[6:7]
.LBB10_399:                             ;   in Loop: Header=BB10_49 Depth=1
	s_or_b64 exec, exec, s[20:21]
	v_mov_b32_e32 v0, v55
.LBB10_400:                             ;   in Loop: Header=BB10_49 Depth=1
	s_or_b64 exec, exec, s[56:57]
	s_and_saveexec_b64 s[56:57], s[46:47]
	s_cbranch_execz .LBB10_48
; %bb.401:                              ;   in Loop: Header=BB10_49 Depth=1
	v_sub_u32_e32 v0, v54, v0
	v_and_b32_e32 v1, 12, v56
	v_min_i32_e32 v0, v55, v0
	v_cmp_ne_u32_e32 vcc, 0, v1
	s_and_saveexec_b64 s[46:47], vcc
	s_cbranch_execz .LBB10_427
; %bb.402:                              ;   in Loop: Header=BB10_49 Depth=1
	buffer_load_dword v6, off, s[0:3], s33 offset:60 ; 4-byte Folded Reload
	buffer_load_dword v7, off, s[0:3], s33 offset:64 ; 4-byte Folded Reload
	;; [unrolled: 1-line block ×4, first 2 shown]
	v_and_b32_e32 v14, 8, v56
	v_add_co_u32_e32 v4, vcc, v46, v14
	v_addc_co_u32_e32 v5, vcc, 0, v47, vcc
	s_waitcnt vmcnt(0)
	v_add_co_u32_e32 v10, vcc, 1, v8
	v_addc_co_u32_e32 v11, vcc, 0, v9, vcc
	v_cmp_lt_u64_e32 vcc, v[4:5], v[10:11]
	s_and_saveexec_b64 s[58:59], vcc
	s_cbranch_execz .LBB10_414
; %bb.403:                              ;   in Loop: Header=BB10_49 Depth=1
	v_and_b32_e32 v1, 64, v56
	s_mov_b32 s94, 0
	v_cmp_eq_u32_e32 vcc, 0, v1
	s_mov_b64 s[60:61], 0
                                        ; implicit-def: $sgpr62_sgpr63
                                        ; implicit-def: $sgpr72_sgpr73
                                        ; implicit-def: $sgpr74_sgpr75
	s_branch .LBB10_407
.LBB10_404:                             ;   in Loop: Header=BB10_407 Depth=2
	s_waitcnt vmcnt(0) lgkmcnt(0)
	v_add_co_u32_e64 v4, s[20:21], v46, v14
	v_addc_co_u32_e64 v5, s[20:21], 0, v47, s[20:21]
	v_cmp_ge_u64_e64 s[20:21], v[4:5], v[10:11]
	s_or_b64 s[88:89], s[88:89], exec
	s_orn2_b64 s[78:79], s[20:21], exec
.LBB10_405:                             ;   in Loop: Header=BB10_407 Depth=2
	s_or_b64 exec, exec, s[92:93]
	s_andn2_b64 s[20:21], s[74:75], exec
	s_and_b64 s[74:75], s[88:89], exec
	s_or_b64 s[74:75], s[20:21], s[74:75]
	s_andn2_b64 s[20:21], s[72:73], exec
	s_and_b64 s[72:73], s[78:79], exec
	s_or_b64 s[72:73], s[20:21], s[72:73]
.LBB10_406:                             ;   in Loop: Header=BB10_407 Depth=2
	s_or_b64 exec, exec, s[76:77]
	s_and_b64 s[20:21], exec, s[72:73]
	s_or_b64 s[60:61], s[20:21], s[60:61]
	s_andn2_b64 s[20:21], s[62:63], exec
	s_and_b64 s[62:63], s[74:75], exec
	s_or_b64 s[62:63], s[20:21], s[62:63]
	s_andn2_b64 exec, exec, s[60:61]
	s_cbranch_execz .LBB10_411
.LBB10_407:                             ;   Parent Loop BB10_49 Depth=1
                                        ; =>  This Inner Loop Header: Depth=2
	s_sleep 1
	s_waitcnt vmcnt(0) lgkmcnt(0)
	flat_load_dwordx2 v[46:47], v[40:41] glc
	s_or_b64 s[74:75], s[74:75], exec
	s_or_b64 s[72:73], s[72:73], exec
                                        ; implicit-def: $vgpr1
	s_and_saveexec_b64 s[76:77], vcc
	s_cbranch_execz .LBB10_406
; %bb.408:                              ;   in Loop: Header=BB10_407 Depth=2
	s_cmpk_lt_i32 s94, 0x270f
	s_cselect_b64 s[90:91], -1, 0
	s_cmpk_gt_i32 s94, 0x270e
	s_mov_b64 s[78:79], -1
	s_cbranch_scc0 .LBB10_410
; %bb.409:                              ;   in Loop: Header=BB10_407 Depth=2
	s_trap 2
	ds_read_b64 v[4:5], v0
	s_andn2_b64 s[90:91], s[90:91], exec
	s_mov_b32 s94, 0
	s_mov_b64 s[88:89], 0
	s_waitcnt vmcnt(0) lgkmcnt(0)
	flat_load_dword v1, v[4:5] glc
	s_waitcnt vmcnt(0) lgkmcnt(0)
	buffer_wbinvl1_vol
	v_cmp_eq_u32_e64 s[20:21], 0, v1
	s_and_b64 s[20:21], s[20:21], exec
	s_or_b64 s[90:91], s[90:91], s[20:21]
	s_and_saveexec_b64 s[92:93], s[90:91]
	s_cbranch_execz .LBB10_405
	s_branch .LBB10_404
.LBB10_410:                             ;   in Loop: Header=BB10_407 Depth=2
	s_add_i32 s94, s94, 1
	s_mov_b64 s[88:89], -1
                                        ; implicit-def: $vgpr1
	s_and_saveexec_b64 s[92:93], s[90:91]
	s_cbranch_execz .LBB10_405
	s_branch .LBB10_404
.LBB10_411:                             ;   in Loop: Header=BB10_49 Depth=1
	s_or_b64 exec, exec, s[60:61]
	s_xor_b64 s[20:21], s[62:63], -1
	s_and_saveexec_b64 s[60:61], s[20:21]
	s_xor_b64 s[20:21], exec, s[60:61]
	s_cbranch_execz .LBB10_413
; %bb.412:                              ;   in Loop: Header=BB10_49 Depth=1
	v_or_b32_e32 v56, 64, v56
	s_waitcnt lgkmcnt(0)
	ds_write_b32 v0, v1
	s_trap 2
.LBB10_413:                             ;   in Loop: Header=BB10_49 Depth=1
	s_or_b64 exec, exec, s[20:21]
.LBB10_414:                             ;   in Loop: Header=BB10_49 Depth=1
	s_or_b64 exec, exec, s[58:59]
	;;#ASMSTART
	s_wakeup
	;;#ASMEND
	buffer_load_dword v4, off, s[0:3], s33 offset:60 ; 4-byte Folded Reload
	buffer_load_dword v5, off, s[0:3], s33 offset:64 ; 4-byte Folded Reload
	;; [unrolled: 1-line block ×4, first 2 shown]
	v_and_b32_e32 v1, 0x108, v56
	v_cmp_ne_u32_e32 vcc, s34, v1
	s_waitcnt vmcnt(0)
	v_and_b32_e32 v15, 7, v6
	s_and_saveexec_b64 s[20:21], vcc
	s_xor_b64 s[20:21], exec, s[20:21]
                                        ; implicit-def: $vgpr1
; %bb.415:                              ;   in Loop: Header=BB10_49 Depth=1
	v_mov_b32_e32 v1, v60
; %bb.416:                              ;   in Loop: Header=BB10_49 Depth=1
	s_andn2_saveexec_b64 s[20:21], s[20:21]
	s_cbranch_execz .LBB10_418
; %bb.417:                              ;   in Loop: Header=BB10_49 Depth=1
	buffer_load_dword v4, off, s[0:3], s33 offset:60 ; 4-byte Folded Reload
	buffer_load_dword v5, off, s[0:3], s33 offset:64 ; 4-byte Folded Reload
	;; [unrolled: 1-line block ×4, first 2 shown]
	v_ashrrev_i32_e32 v1, 31, v0
	s_waitcnt vmcnt(0)
	v_lshlrev_b64 v[6:7], 1, v[0:1]
	v_mov_b32_e32 v1, v60
	v_mad_u64_u32 v[4:5], s[58:59], v15, 24, v[4:5]
	flat_store_dwordx2 v[4:5], v[6:7] offset:8
.LBB10_418:                             ;   in Loop: Header=BB10_49 Depth=1
	s_or_b64 exec, exec, s[20:21]
	v_and_b32_e32 v4, 0x100, v56
	v_cmp_ne_u32_e32 vcc, 0, v4
	s_mov_b64 s[20:21], -1
                                        ; implicit-def: $vgpr8_vgpr9
	s_and_saveexec_b64 s[58:59], vcc
	s_cbranch_execz .LBB10_422
; %bb.419:                              ;   in Loop: Header=BB10_49 Depth=1
	buffer_load_dword v4, off, s[0:3], s33 offset:60 ; 4-byte Folded Reload
	buffer_load_dword v5, off, s[0:3], s33 offset:64 ; 4-byte Folded Reload
	;; [unrolled: 1-line block ×4, first 2 shown]
                                        ; implicit-def: $vgpr8_vgpr9
	s_waitcnt vmcnt(0)
	v_mad_u64_u32 v[12:13], s[20:21], v15, 24, v[4:5]
	v_mov_b32_e32 v4, v13
	v_mad_u64_u32 v[4:5], s[20:21], v1, 24, v[4:5]
	v_mov_b32_e32 v13, v4
	flat_load_dword v4, v[12:13]
	s_waitcnt vmcnt(0) lgkmcnt(0)
	v_cmp_ne_u32_e32 vcc, 1, v4
	v_cmp_eq_u32_e64 s[20:21], 1, v4
	s_and_saveexec_b64 s[60:61], s[20:21]
	s_cbranch_execz .LBB10_421
; %bb.420:                              ;   in Loop: Header=BB10_49 Depth=1
	flat_load_dword v4, v[12:13] offset:4 glc
	s_waitcnt vmcnt(0) lgkmcnt(0)
	v_ashrrev_i32_e32 v5, 31, v4
	v_lshrrev_b64 v[8:9], 1, v[4:5]
.LBB10_421:                             ;   in Loop: Header=BB10_49 Depth=1
	s_or_b64 exec, exec, s[60:61]
	s_orn2_b64 s[20:21], vcc, exec
.LBB10_422:                             ;   in Loop: Header=BB10_49 Depth=1
	s_or_b64 exec, exec, s[58:59]
	s_and_saveexec_b64 s[58:59], s[20:21]
	s_cbranch_execz .LBB10_424
; %bb.423:                              ;   in Loop: Header=BB10_49 Depth=1
	buffer_load_dword v4, off, s[0:3], s33 offset:144 ; 4-byte Folded Reload
	v_mul_lo_u32 v1, v1, v43
	v_mad_u64_u32 v[8:9], s[20:21], v15, v43, 0
	s_waitcnt vmcnt(0)
	v_mul_lo_u32 v4, v15, v4
	v_add3_u32 v9, v9, v4, v1
.LBB10_424:                             ;   in Loop: Header=BB10_49 Depth=1
	s_or_b64 exec, exec, s[58:59]
	buffer_load_dword v6, off, s[0:3], s33 offset:100 ; 4-byte Folded Reload
	buffer_load_dword v7, off, s[0:3], s33 offset:104 ; 4-byte Folded Reload
	v_lshlrev_b64 v[4:5], 1, v[8:9]
	v_cmp_eq_u32_e32 vcc, 0, v14
	v_cndmask_b32_e32 v1, v33, v34, vcc
	v_add_u32_e32 v1, v0, v1
	s_waitcnt vmcnt(0)
	v_add_co_u32_e32 v4, vcc, v6, v4
	v_addc_co_u32_e32 v5, vcc, v7, v5, vcc
	ds_write_b64 v1, v[4:5] offset:584
	v_and_b32_e32 v1, 0x2000, v56
	v_cmp_ne_u32_e32 vcc, 0, v1
	s_and_saveexec_b64 s[20:21], vcc
	s_cbranch_execz .LBB10_426
; %bb.425:                              ;   in Loop: Header=BB10_49 Depth=1
	ds_read_b64 v[4:5], v0 offset:872
	s_waitcnt lgkmcnt(0)
	v_add_co_u32_e32 v4, vcc, 1, v4
	v_addc_co_u32_e32 v5, vcc, 0, v5, vcc
	ds_write_b64 v0, v[4:5] offset:872
.LBB10_426:                             ;   in Loop: Header=BB10_49 Depth=1
	s_or_b64 exec, exec, s[20:21]
	buffer_load_dword v4, off, s[0:3], s33 offset:60 ; 4-byte Folded Reload
	buffer_load_dword v5, off, s[0:3], s33 offset:64 ; 4-byte Folded Reload
	;; [unrolled: 1-line block ×4, first 2 shown]
	s_waitcnt vmcnt(0)
	v_mov_b32_e32 v6, v10
	v_mov_b32_e32 v7, v11
	buffer_store_dword v4, off, s[0:3], s33 offset:60 ; 4-byte Folded Spill
	s_nop 0
	buffer_store_dword v5, off, s[0:3], s33 offset:64 ; 4-byte Folded Spill
	buffer_store_dword v6, off, s[0:3], s33 offset:68 ; 4-byte Folded Spill
	;; [unrolled: 1-line block ×3, first 2 shown]
.LBB10_427:                             ;   in Loop: Header=BB10_49 Depth=1
	s_or_b64 exec, exec, s[46:47]
	s_and_saveexec_b64 s[20:21], s[10:11]
	s_cbranch_execz .LBB10_446
; %bb.428:                              ;   in Loop: Header=BB10_49 Depth=1
	s_and_saveexec_b64 s[46:47], s[40:41]
	s_xor_b64 s[46:47], exec, s[46:47]
	s_cbranch_execz .LBB10_443
; %bb.429:                              ;   in Loop: Header=BB10_49 Depth=1
	s_and_saveexec_b64 s[58:59], s[12:13]
	s_cbranch_execz .LBB10_442
; %bb.430:                              ;   in Loop: Header=BB10_49 Depth=1
	s_mov_b64 s[62:63], exec
	v_mbcnt_lo_u32_b32 v1, s62, 0
	v_mbcnt_hi_u32_b32 v1, s63, v1
	v_cmp_eq_u32_e32 vcc, 0, v1
	s_waitcnt vmcnt(0) lgkmcnt(0)
	buffer_wbinvl1_vol
	s_and_saveexec_b64 s[60:61], vcc
	s_cbranch_execz .LBB10_432
; %bb.431:                              ;   in Loop: Header=BB10_49 Depth=1
	s_bcnt1_i32_b64 s62, s[62:63]
	v_mov_b32_e32 v4, s62
	v_mov_b32_e32 v5, v60
	ds_add_u64 v0, v[4:5]
	s_trap 2
.LBB10_432:                             ;   in Loop: Header=BB10_49 Depth=1
	s_or_b64 exec, exec, s[60:61]
	s_trap 2
	ds_read_b64 v[4:5], v0
	s_waitcnt lgkmcnt(0)
	v_add_co_u32_e32 v44, vcc, v44, v57
	v_addc_co_u32_e32 v45, vcc, 0, v45, vcc
	v_cmp_lt_u64_e32 vcc, v[4:5], v[44:45]
	s_and_saveexec_b64 s[60:61], vcc
	s_cbranch_execz .LBB10_441
; %bb.433:                              ;   in Loop: Header=BB10_49 Depth=1
	s_mov_b32 s90, 0
	s_mov_b64 s[62:63], 0
                                        ; implicit-def: $sgpr72_sgpr73
                                        ; implicit-def: $sgpr74_sgpr75
	s_branch .LBB10_435
.LBB10_434:                             ;   in Loop: Header=BB10_435 Depth=2
	s_or_b64 exec, exec, s[78:79]
	s_and_b64 s[76:77], exec, s[88:89]
	s_or_b64 s[62:63], s[76:77], s[62:63]
	s_andn2_b64 s[72:73], s[72:73], exec
	s_and_b64 s[76:77], s[74:75], exec
	s_or_b64 s[72:73], s[72:73], s[76:77]
	s_andn2_b64 exec, exec, s[62:63]
	s_cbranch_execz .LBB10_439
.LBB10_435:                             ;   Parent Loop BB10_49 Depth=1
                                        ; =>  This Inner Loop Header: Depth=2
	s_add_i32 s90, s90, 1
	s_cmpk_lg_i32 s90, 0x2710
	s_cselect_b64 s[76:77], -1, 0
	s_and_b64 vcc, exec, s[76:77]
	s_cbranch_vccz .LBB10_437
; %bb.436:                              ;   in Loop: Header=BB10_435 Depth=2
	s_mov_b64 s[88:89], -1
	s_or_b64 s[74:75], s[74:75], exec
	s_and_saveexec_b64 s[78:79], s[76:77]
	s_cbranch_execz .LBB10_434
	s_branch .LBB10_438
.LBB10_437:                             ;   in Loop: Header=BB10_435 Depth=2
	s_trap 2
	ds_read_b64 v[4:5], v0
	s_andn2_b64 s[76:77], s[76:77], exec
	s_mov_b32 s90, 0
	s_waitcnt lgkmcnt(0)
	flat_load_dword v1, v[4:5] glc
	s_waitcnt vmcnt(0) lgkmcnt(0)
	buffer_wbinvl1_vol
	v_cmp_eq_u32_e32 vcc, 0, v1
	s_and_b64 s[78:79], vcc, exec
	s_or_b64 s[76:77], s[76:77], s[78:79]
	s_mov_b64 s[88:89], -1
	s_or_b64 s[74:75], s[74:75], exec
	s_and_saveexec_b64 s[78:79], s[76:77]
	s_cbranch_execz .LBB10_434
.LBB10_438:                             ;   in Loop: Header=BB10_435 Depth=2
	s_sleep 1
	s_trap 2
	ds_read_b64 v[4:5], v0
	s_waitcnt lgkmcnt(0)
	s_andn2_b64 s[74:75], s[74:75], exec
	v_cmp_ge_u64_e32 vcc, v[4:5], v[44:45]
	s_orn2_b64 s[88:89], vcc, exec
	s_branch .LBB10_434
.LBB10_439:                             ;   in Loop: Header=BB10_49 Depth=1
	s_or_b64 exec, exec, s[62:63]
	s_and_saveexec_b64 s[62:63], s[72:73]
	s_xor_b64 s[62:63], exec, s[62:63]
	s_cbranch_execz .LBB10_441
; %bb.440:                              ;   in Loop: Header=BB10_49 Depth=1
	v_mov_b32_e32 v1, 1
	ds_write_b32 v0, v1
	s_trap 2
.LBB10_441:                             ;   in Loop: Header=BB10_49 Depth=1
	s_or_b64 exec, exec, s[60:61]
	;;#ASMSTART
	s_wakeup
	;;#ASMEND
.LBB10_442:                             ;   in Loop: Header=BB10_49 Depth=1
	s_or_b64 exec, exec, s[58:59]
.LBB10_443:                             ;   in Loop: Header=BB10_49 Depth=1
	s_andn2_saveexec_b64 s[46:47], s[46:47]
	s_cbranch_execz .LBB10_445
; %bb.444:                              ;   in Loop: Header=BB10_49 Depth=1
	s_waitcnt vmcnt(0) lgkmcnt(0)
	buffer_wbinvl1_vol
	s_barrier
.LBB10_445:                             ;   in Loop: Header=BB10_49 Depth=1
	s_or_b64 exec, exec, s[46:47]
.LBB10_446:                             ;   in Loop: Header=BB10_49 Depth=1
	s_or_b64 exec, exec, s[20:21]
	s_trap 2
	ds_read_b32 v1, v0
	v_cmp_lt_i32_e32 vcc, 0, v0
	v_and_b32_e32 v0, 16, v56
	s_waitcnt lgkmcnt(0)
	v_readfirstlane_b32 s20, v1
	s_cmp_eq_u32 s20, 0
	s_cselect_b64 s[20:21], -1, 0
	s_and_b64 s[20:21], vcc, s[20:21]
	v_cmp_ne_u32_e32 vcc, 0, v0
	s_and_b64 s[46:47], vcc, s[20:21]
	s_and_saveexec_b64 s[20:21], s[46:47]
	s_cbranch_execz .LBB10_448
; %bb.447:                              ;   in Loop: Header=BB10_49 Depth=1
	s_waitcnt vmcnt(0)
	buffer_wbinvl1_vol
.LBB10_448:                             ;   in Loop: Header=BB10_49 Depth=1
	s_or_b64 exec, exec, s[20:21]
	v_cmp_ne_u32_e32 vcc, 0, v0
	s_xor_b64 s[20:21], s[18:19], -1
	s_and_b64 s[46:47], vcc, s[20:21]
	s_and_saveexec_b64 s[20:21], s[46:47]
	s_cbranch_execz .LBB10_450
; %bb.449:                              ;   in Loop: Header=BB10_49 Depth=1
	buffer_load_dword v0, off, s[0:3], s33 offset:108 ; 4-byte Folded Reload
	buffer_load_dword v1, off, s[0:3], s33 offset:112 ; 4-byte Folded Reload
	v_mov_b32_e32 v4, 1
	s_waitcnt vmcnt(0)
	flat_store_dword v[0:1], v4
.LBB10_450:                             ;   in Loop: Header=BB10_49 Depth=1
	s_or_b64 exec, exec, s[20:21]
	v_and_b32_e32 v0, 48, v56
	v_cmp_ne_u32_e32 vcc, 0, v0
	s_and_saveexec_b64 s[20:21], vcc
	s_cbranch_execz .LBB10_47
; %bb.451:                              ;   in Loop: Header=BB10_49 Depth=1
	buffer_load_dword v4, off, s[0:3], s33 offset:60 ; 4-byte Folded Reload
	buffer_load_dword v5, off, s[0:3], s33 offset:64 ; 4-byte Folded Reload
	;; [unrolled: 1-line block ×4, first 2 shown]
	s_waitcnt vmcnt(0)
	v_add_co_u32_e32 v6, vcc, 1, v6
	v_addc_co_u32_e32 v7, vcc, 0, v7, vcc
	buffer_store_dword v4, off, s[0:3], s33 offset:60 ; 4-byte Folded Spill
	s_nop 0
	buffer_store_dword v5, off, s[0:3], s33 offset:64 ; 4-byte Folded Spill
	buffer_store_dword v6, off, s[0:3], s33 offset:68 ; 4-byte Folded Spill
	buffer_store_dword v7, off, s[0:3], s33 offset:72 ; 4-byte Folded Spill
	flat_store_dwordx2 v[40:41], v[6:7]
	s_branch .LBB10_47
.LBB10_452:
	s_or_b64 exec, exec, s[42:43]
	buffer_load_dword v52, off, s[0:3], s33 offset:148 ; 4-byte Folded Reload
	buffer_load_dword v53, off, s[0:3], s33 offset:152 ; 4-byte Folded Reload
	;; [unrolled: 1-line block ×5, first 2 shown]
.LBB10_453:
	s_or_b64 exec, exec, s[28:29]
                                        ; implicit-def: $vgpr58_vgpr59
                                        ; implicit-def: $vgpr50_vgpr51
                                        ; implicit-def: $vgpr43
                                        ; implicit-def: $vgpr46_vgpr47
                                        ; implicit-def: $vgpr0_vgpr1
                                        ; kill: killed $vgpr0_vgpr1
                                        ; implicit-def: $vgpr40_vgpr41
                                        ; implicit-def: $vgpr42
                                        ; implicit-def: $vgpr21
                                        ; implicit-def: $vgpr60
.LBB10_454:
	s_andn2_saveexec_b64 s[20:21], s[26:27]
	s_cbranch_execz .LBB10_852
; %bb.455:
	v_mov_b32_e32 v44, 0
	v_cmp_ne_u64_e32 vcc, 0, v[50:51]
	v_mov_b32_e32 v45, 0
	s_and_saveexec_b64 s[26:27], vcc
	s_cbranch_execz .LBB10_851
; %bb.456:
	buffer_store_dword v43, off, s[0:3], s33 offset:116 ; 4-byte Folded Spill
	s_waitcnt vmcnt(0)
	buffer_store_dword v52, off, s[0:3], s33 offset:148 ; 4-byte Folded Spill
	s_nop 0
	buffer_store_dword v53, off, s[0:3], s33 offset:152 ; 4-byte Folded Spill
	buffer_store_dword v58, off, s[0:3], s33 offset:120 ; 4-byte Folded Spill
	s_nop 0
	buffer_store_dword v59, off, s[0:3], s33 offset:124 ; 4-byte Folded Spill
	v_and_b32_e32 v0, 63, v31
	v_cmp_eq_u32_e64 s[12:13], 0, v0
	v_ashrrev_i32_e32 v0, 31, v42
	v_lshrrev_b32_e32 v0, 26, v0
	v_add_u32_e32 v0, v42, v0
	v_ashrrev_i32_e32 v29, 6, v0
	v_and_b32_e32 v0, 0xffffffc0, v0
	v_sub_u32_e32 v2, v42, v0
	v_lshlrev_b32_e32 v0, 12, v29
	v_lshl_add_u32 v0, v2, 4, v0
	s_trap 2
	v_lshrrev_b32_e32 v1, 6, v54
	buffer_store_dword v0, off, s[0:3], s33 offset:196 ; 4-byte Folded Spill
	v_ashrrev_i32_e32 v0, 31, v0
	s_lshr_b32 s6, s30, 27
	buffer_store_dword v0, off, s[0:3], s33 offset:200 ; 4-byte Folded Spill
	v_lshlrev_b32_e32 v0, 10, v1
	s_add_i32 s6, s30, s6
	v_cmp_eq_u32_e32 vcc, 64, v54
	buffer_store_dword v0, off, s[0:3], s33 offset:108 ; 4-byte Folded Spill
	v_lshlrev_b32_e32 v0, 1, v54
	v_mov_b32_e32 v58, 0
	v_mov_b32_e32 v44, 0
	s_ashr_i32 s94, s6, 5
	v_cmp_ge_i32_e64 s[6:7], v42, v54
	v_cmp_ne_u32_e64 s[10:11], 64, v54
	v_cmp_ne_u32_sdwa s[28:29], v54, v23 src0_sel:DWORD src1_sel:WORD_0
	buffer_store_dword v31, off, s[0:3], s33 offset:156 ; 4-byte Folded Spill
	v_mov_b32_e32 v3, 0
	v_cmp_le_i32_e64 s[14:15], v2, v21
	v_cmp_gt_i32_e64 s[16:17], 1, v2
	v_lshlrev_b32_e32 v31, 12, v1
	v_mov_b32_e32 v57, v1
	v_lshlrev_b32_e32 v55, 11, v1
	buffer_store_dword v54, off, s[0:3], s33 offset:184 ; 4-byte Folded Spill
	v_and_b32_e32 v54, 0x7f80, v0
	s_mov_b64 s[40:41], 0
	v_mov_b32_e32 v59, 0
	v_mov_b32_e32 v45, 0
	s_xor_b64 s[42:43], vcc, -1
	s_mov_b32 s95, 0x7f800000
	s_movk_i32 s31, 0x7fff
	s_mov_b32 s34, 0xffff0000
	s_movk_i32 s35, 0xfc00
	buffer_store_dword v23, off, s[0:3], s33 offset:160 ; 4-byte Folded Spill
	buffer_store_dword v2, off, s[0:3], s33 offset:192 ; 4-byte Folded Spill
	buffer_store_dword v29, off, s[0:3], s33 offset:164 ; 4-byte Folded Spill
	buffer_store_dword v50, off, s[0:3], s33 offset:76 ; 4-byte Folded Spill
	s_nop 0
	buffer_store_dword v51, off, s[0:3], s33 offset:80 ; 4-byte Folded Spill
	buffer_store_dword v52, off, s[0:3], s33 offset:84 ; 4-byte Folded Spill
	;; [unrolled: 1-line block ×4, first 2 shown]
	s_nop 0
	buffer_store_dword v61, off, s[0:3], s33 offset:96 ; 4-byte Folded Spill
	s_branch .LBB10_459
.LBB10_457:                             ;   in Loop: Header=BB10_459 Depth=1
	s_or_b64 exec, exec, s[18:19]
.LBB10_458:                             ;   in Loop: Header=BB10_459 Depth=1
	s_or_b64 exec, exec, s[46:47]
	buffer_load_dword v60, off, s[0:3], s33 offset:92 ; 4-byte Folded Reload
	buffer_load_dword v61, off, s[0:3], s33 offset:96 ; 4-byte Folded Reload
	;; [unrolled: 1-line block ×6, first 2 shown]
	s_waitcnt vmcnt(0)
	v_add_co_u32_e32 v58, vcc, v58, v60
	v_addc_co_u32_e32 v59, vcc, 0, v59, vcc
	v_cmp_ge_u64_e32 vcc, v[58:59], v[50:51]
	s_or_b64 s[40:41], vcc, s[40:41]
	s_andn2_b64 exec, exec, s[40:41]
	s_cbranch_execz .LBB10_850
.LBB10_459:                             ; =>This Loop Header: Depth=1
                                        ;     Child Loop BB10_468 Depth 2
                                        ;     Child Loop BB10_492 Depth 2
	;; [unrolled: 1-line block ×10, first 2 shown]
	v_sub_co_u32_e32 v0, vcc, v50, v58
	v_subb_co_u32_e32 v1, vcc, v51, v59, vcc
	v_cmp_lt_u64_e32 vcc, v[60:61], v[0:1]
	v_mov_b32_e32 v4, v60
	v_mov_b32_e32 v5, v61
	v_cndmask_b32_e64 v61, v1, 0, vcc
	v_cndmask_b32_e32 v60, v0, v4, vcc
	v_cmp_eq_u64_e32 vcc, 0, v[60:61]
	v_add_u32_e32 v0, 15, v60
	v_and_b32_e32 v0, 0x3ffffff0, v0
	s_or_b64 s[44:45], s[6:7], vcc
	v_max_i32_e32 v43, s94, v0
	s_xor_b64 s[18:19], s[44:45], -1
	v_mov_b32_e32 v12, 0
	s_and_saveexec_b64 s[46:47], s[18:19]
	s_cbranch_execz .LBB10_804
; %bb.460:                              ;   in Loop: Header=BB10_459 Depth=1
	s_and_saveexec_b64 s[18:19], s[4:5]
	s_cbranch_execz .LBB10_462
; %bb.461:                              ;   in Loop: Header=BB10_459 Depth=1
	s_trap 2
	ds_read2_b64 v[4:7], v0 offset1:1
	buffer_load_dword v0, off, s[0:3], s33 offset:120 ; 4-byte Folded Reload
	buffer_load_dword v1, off, s[0:3], s33 offset:124 ; 4-byte Folded Reload
	s_waitcnt vmcnt(0)
	v_add_co_u32_e32 v0, vcc, v58, v0
	v_addc_co_u32_e32 v1, vcc, v59, v1, vcc
	v_lshlrev_b64 v[0:1], 1, v[0:1]
	ds_read_b64 v[8:9], v0
	s_waitcnt lgkmcnt(0)
	v_add_co_u32_e32 v4, vcc, v4, v0
	v_addc_co_u32_e32 v5, vcc, v5, v1, vcc
	ds_write_b64 v0, v[4:5]
	v_add_co_u32_e32 v4, vcc, v6, v0
	v_addc_co_u32_e32 v5, vcc, v7, v1, vcc
	ds_write_b64 v0, v[4:5]
	v_add_co_u32_e32 v0, vcc, v8, v0
	v_addc_co_u32_e32 v1, vcc, v9, v1, vcc
	v_cmp_ne_u64_e32 vcc, 0, v[8:9]
	v_cndmask_b32_e32 v1, 0, v1, vcc
	v_cndmask_b32_e32 v0, 0, v0, vcc
	ds_write_b64 v0, v[0:1]
.LBB10_462:                             ;   in Loop: Header=BB10_459 Depth=1
	s_or_b64 exec, exec, s[18:19]
	v_and_b32_e32 v0, 4, v56
	v_cmp_ne_u32_e32 vcc, 0, v0
	s_and_saveexec_b64 s[56:57], vcc
	s_cbranch_execz .LBB10_484
; %bb.463:                              ;   in Loop: Header=BB10_459 Depth=1
	buffer_load_dword v4, off, s[0:3], s33 offset:60 ; 4-byte Folded Reload
	buffer_load_dword v5, off, s[0:3], s33 offset:64 ; 4-byte Folded Reload
	;; [unrolled: 1-line block ×4, first 2 shown]
	s_waitcnt vmcnt(0)
	v_add_co_u32_e32 v0, vcc, 1, v6
	v_addc_co_u32_e32 v1, vcc, 0, v7, vcc
	v_cmp_lt_u64_e32 vcc, v[46:47], v[0:1]
	s_and_saveexec_b64 s[58:59], vcc
	s_cbranch_execz .LBB10_475
; %bb.464:                              ;   in Loop: Header=BB10_459 Depth=1
	v_and_b32_e32 v2, 64, v56
	s_mov_b32 s36, 0
	v_cmp_eq_u32_e32 vcc, 0, v2
	s_mov_b64 s[60:61], 0
                                        ; implicit-def: $sgpr62_sgpr63
                                        ; implicit-def: $sgpr72_sgpr73
                                        ; implicit-def: $sgpr74_sgpr75
	s_branch .LBB10_468
.LBB10_465:                             ;   in Loop: Header=BB10_468 Depth=2
	s_waitcnt vmcnt(0) lgkmcnt(0)
	v_cmp_ge_u64_e64 s[18:19], v[46:47], v[0:1]
	s_or_b64 s[88:89], s[88:89], exec
	s_orn2_b64 s[78:79], s[18:19], exec
.LBB10_466:                             ;   in Loop: Header=BB10_468 Depth=2
	s_or_b64 exec, exec, s[92:93]
	s_andn2_b64 s[18:19], s[74:75], exec
	s_and_b64 s[74:75], s[88:89], exec
	s_or_b64 s[74:75], s[18:19], s[74:75]
	s_andn2_b64 s[18:19], s[72:73], exec
	s_and_b64 s[72:73], s[78:79], exec
	s_or_b64 s[72:73], s[18:19], s[72:73]
.LBB10_467:                             ;   in Loop: Header=BB10_468 Depth=2
	s_or_b64 exec, exec, s[76:77]
	s_and_b64 s[18:19], exec, s[72:73]
	s_or_b64 s[60:61], s[18:19], s[60:61]
	s_andn2_b64 s[18:19], s[62:63], exec
	s_and_b64 s[62:63], s[74:75], exec
	s_or_b64 s[62:63], s[18:19], s[62:63]
	s_andn2_b64 exec, exec, s[60:61]
	s_cbranch_execz .LBB10_472
.LBB10_468:                             ;   Parent Loop BB10_459 Depth=1
                                        ; =>  This Inner Loop Header: Depth=2
	s_sleep 1
	s_waitcnt vmcnt(0) lgkmcnt(0)
	flat_load_dwordx2 v[46:47], v[40:41] glc
	s_or_b64 s[74:75], s[74:75], exec
	s_or_b64 s[72:73], s[72:73], exec
                                        ; implicit-def: $vgpr2
	s_and_saveexec_b64 s[76:77], vcc
	s_cbranch_execz .LBB10_467
; %bb.469:                              ;   in Loop: Header=BB10_468 Depth=2
	s_cmpk_lt_i32 s36, 0x270f
	s_cselect_b64 s[90:91], -1, 0
	s_cmpk_gt_i32 s36, 0x270e
	s_mov_b64 s[78:79], -1
	s_cbranch_scc0 .LBB10_471
; %bb.470:                              ;   in Loop: Header=BB10_468 Depth=2
	s_trap 2
	ds_read_b64 v[4:5], v0
	s_andn2_b64 s[90:91], s[90:91], exec
	s_mov_b32 s36, 0
	s_mov_b64 s[88:89], 0
	s_waitcnt vmcnt(0) lgkmcnt(0)
	flat_load_dword v2, v[4:5] glc
	s_waitcnt vmcnt(0) lgkmcnt(0)
	buffer_wbinvl1_vol
	v_cmp_eq_u32_e64 s[18:19], 0, v2
	s_and_b64 s[18:19], s[18:19], exec
	s_or_b64 s[90:91], s[90:91], s[18:19]
	s_and_saveexec_b64 s[92:93], s[90:91]
	s_cbranch_execz .LBB10_466
	s_branch .LBB10_465
.LBB10_471:                             ;   in Loop: Header=BB10_468 Depth=2
	s_add_i32 s36, s36, 1
	s_mov_b64 s[88:89], -1
                                        ; implicit-def: $vgpr2
	s_and_saveexec_b64 s[92:93], s[90:91]
	s_cbranch_execz .LBB10_466
	s_branch .LBB10_465
.LBB10_472:                             ;   in Loop: Header=BB10_459 Depth=1
	s_or_b64 exec, exec, s[60:61]
	s_xor_b64 s[18:19], s[62:63], -1
	s_and_saveexec_b64 s[60:61], s[18:19]
	s_xor_b64 s[18:19], exec, s[60:61]
	s_cbranch_execz .LBB10_474
; %bb.473:                              ;   in Loop: Header=BB10_459 Depth=1
	v_or_b32_e32 v56, 64, v56
	s_waitcnt lgkmcnt(0)
	ds_write_b32 v0, v2
	s_trap 2
.LBB10_474:                             ;   in Loop: Header=BB10_459 Depth=1
	s_or_b64 exec, exec, s[18:19]
.LBB10_475:                             ;   in Loop: Header=BB10_459 Depth=1
	s_or_b64 exec, exec, s[58:59]
	;;#ASMSTART
	s_wakeup
	;;#ASMEND
	buffer_load_dword v4, off, s[0:3], s33 offset:60 ; 4-byte Folded Reload
	buffer_load_dword v5, off, s[0:3], s33 offset:64 ; 4-byte Folded Reload
	;; [unrolled: 1-line block ×4, first 2 shown]
	v_and_b32_e32 v2, 0x100, v56
	v_cmp_ne_u32_e32 vcc, 0, v2
	s_mov_b64 s[18:19], -1
                                        ; implicit-def: $vgpr8_vgpr9
	s_waitcnt vmcnt(0)
	v_and_b32_e32 v2, 7, v6
	s_and_saveexec_b64 s[58:59], vcc
	s_cbranch_execz .LBB10_479
; %bb.476:                              ;   in Loop: Header=BB10_459 Depth=1
	buffer_load_dword v4, off, s[0:3], s33 offset:60 ; 4-byte Folded Reload
	buffer_load_dword v5, off, s[0:3], s33 offset:64 ; 4-byte Folded Reload
	;; [unrolled: 1-line block ×4, first 2 shown]
                                        ; implicit-def: $vgpr8_vgpr9
	s_waitcnt vmcnt(0)
	v_mad_u64_u32 v[10:11], s[18:19], v2, 24, v[4:5]
	flat_load_dword v4, v[10:11]
	s_waitcnt vmcnt(0) lgkmcnt(0)
	v_cmp_ne_u32_e32 vcc, 1, v4
	v_cmp_eq_u32_e64 s[18:19], 1, v4
	s_and_saveexec_b64 s[60:61], s[18:19]
	s_cbranch_execz .LBB10_478
; %bb.477:                              ;   in Loop: Header=BB10_459 Depth=1
	flat_load_dword v4, v[10:11] offset:4 glc
	s_waitcnt vmcnt(0) lgkmcnt(0)
	v_ashrrev_i32_e32 v5, 31, v4
	v_lshrrev_b64 v[8:9], 1, v[4:5]
.LBB10_478:                             ;   in Loop: Header=BB10_459 Depth=1
	s_or_b64 exec, exec, s[60:61]
	s_orn2_b64 s[18:19], vcc, exec
.LBB10_479:                             ;   in Loop: Header=BB10_459 Depth=1
	s_or_b64 exec, exec, s[58:59]
	s_and_saveexec_b64 s[58:59], s[18:19]
	s_cbranch_execz .LBB10_481
; %bb.480:                              ;   in Loop: Header=BB10_459 Depth=1
	buffer_load_dword v4, off, s[0:3], s33 offset:116 ; 4-byte Folded Reload
	s_waitcnt vmcnt(0)
	v_mad_i64_i32 v[8:9], s[18:19], v2, v4, 0
.LBB10_481:                             ;   in Loop: Header=BB10_459 Depth=1
	s_or_b64 exec, exec, s[58:59]
	buffer_load_dword v6, off, s[0:3], s33 offset:100 ; 4-byte Folded Reload
	buffer_load_dword v7, off, s[0:3], s33 offset:104 ; 4-byte Folded Reload
	v_lshlrev_b64 v[4:5], 1, v[8:9]
	v_and_b32_e32 v2, 0x2000, v56
	s_waitcnt vmcnt(0)
	v_add_co_u32_e32 v4, vcc, v6, v4
	v_addc_co_u32_e32 v5, vcc, v7, v5, vcc
	v_cmp_ne_u32_e32 vcc, 0, v2
	ds_write_b64 v0, v[4:5] offset:728
	s_and_saveexec_b64 s[18:19], vcc
	s_cbranch_execz .LBB10_483
; %bb.482:                              ;   in Loop: Header=BB10_459 Depth=1
	ds_read_b64 v[4:5], v0 offset:872
	s_waitcnt lgkmcnt(0)
	v_add_co_u32_e32 v4, vcc, 1, v4
	v_addc_co_u32_e32 v5, vcc, 0, v5, vcc
	ds_write_b64 v0, v[4:5] offset:872
.LBB10_483:                             ;   in Loop: Header=BB10_459 Depth=1
	s_or_b64 exec, exec, s[18:19]
	buffer_load_dword v4, off, s[0:3], s33 offset:60 ; 4-byte Folded Reload
	buffer_load_dword v5, off, s[0:3], s33 offset:64 ; 4-byte Folded Reload
	;; [unrolled: 1-line block ×4, first 2 shown]
	s_waitcnt vmcnt(0)
	v_mov_b32_e32 v7, v1
	v_mov_b32_e32 v6, v0
	buffer_store_dword v4, off, s[0:3], s33 offset:60 ; 4-byte Folded Spill
	s_nop 0
	buffer_store_dword v5, off, s[0:3], s33 offset:64 ; 4-byte Folded Spill
	buffer_store_dword v6, off, s[0:3], s33 offset:68 ; 4-byte Folded Spill
	;; [unrolled: 1-line block ×3, first 2 shown]
.LBB10_484:                             ;   in Loop: Header=BB10_459 Depth=1
	s_or_b64 exec, exec, s[56:57]
	s_and_saveexec_b64 s[18:19], s[10:11]
	s_cbranch_execz .LBB10_503
; %bb.485:                              ;   in Loop: Header=BB10_459 Depth=1
	s_and_saveexec_b64 s[56:57], s[28:29]
	s_xor_b64 s[56:57], exec, s[56:57]
	s_cbranch_execz .LBB10_500
; %bb.486:                              ;   in Loop: Header=BB10_459 Depth=1
	s_and_saveexec_b64 s[58:59], s[12:13]
	s_cbranch_execz .LBB10_499
; %bb.487:                              ;   in Loop: Header=BB10_459 Depth=1
	s_mov_b64 s[62:63], exec
	v_mbcnt_lo_u32_b32 v0, s62, 0
	v_mbcnt_hi_u32_b32 v0, s63, v0
	v_cmp_eq_u32_e32 vcc, 0, v0
	s_waitcnt vmcnt(0) lgkmcnt(0)
	buffer_wbinvl1_vol
	s_and_saveexec_b64 s[60:61], vcc
	s_cbranch_execz .LBB10_489
; %bb.488:                              ;   in Loop: Header=BB10_459 Depth=1
	s_bcnt1_i32_b64 s62, s[62:63]
	v_mov_b32_e32 v2, s62
	ds_add_u64 v0, v[2:3]
	s_trap 2
.LBB10_489:                             ;   in Loop: Header=BB10_459 Depth=1
	s_or_b64 exec, exec, s[60:61]
	s_trap 2
	ds_read_b64 v[0:1], v0
	s_waitcnt lgkmcnt(0)
	v_mov_b32_e32 v4, v44
	v_mov_b32_e32 v5, v45
	v_add_co_u32_e32 v4, vcc, v4, v57
	v_addc_co_u32_e32 v5, vcc, 0, v5, vcc
	v_mov_b32_e32 v45, v5
	v_cmp_lt_u64_e32 vcc, v[0:1], v[4:5]
	v_mov_b32_e32 v44, v4
	s_and_saveexec_b64 s[60:61], vcc
	s_cbranch_execz .LBB10_498
; %bb.490:                              ;   in Loop: Header=BB10_459 Depth=1
	s_mov_b32 s90, 0
	s_mov_b64 s[62:63], 0
                                        ; implicit-def: $sgpr72_sgpr73
                                        ; implicit-def: $sgpr74_sgpr75
	s_branch .LBB10_492
.LBB10_491:                             ;   in Loop: Header=BB10_492 Depth=2
	s_or_b64 exec, exec, s[78:79]
	s_and_b64 s[76:77], exec, s[88:89]
	s_or_b64 s[62:63], s[76:77], s[62:63]
	s_andn2_b64 s[72:73], s[72:73], exec
	s_and_b64 s[76:77], s[74:75], exec
	s_or_b64 s[72:73], s[72:73], s[76:77]
	s_andn2_b64 exec, exec, s[62:63]
	s_cbranch_execz .LBB10_496
.LBB10_492:                             ;   Parent Loop BB10_459 Depth=1
                                        ; =>  This Inner Loop Header: Depth=2
	s_add_i32 s90, s90, 1
	s_cmpk_lg_i32 s90, 0x2710
	s_cselect_b64 s[76:77], -1, 0
	s_and_b64 vcc, exec, s[76:77]
	s_cbranch_vccz .LBB10_494
; %bb.493:                              ;   in Loop: Header=BB10_492 Depth=2
	s_mov_b64 s[88:89], -1
	s_or_b64 s[74:75], s[74:75], exec
	s_and_saveexec_b64 s[78:79], s[76:77]
	s_cbranch_execz .LBB10_491
	s_branch .LBB10_495
.LBB10_494:                             ;   in Loop: Header=BB10_492 Depth=2
	s_trap 2
	ds_read_b64 v[0:1], v0
	s_andn2_b64 s[76:77], s[76:77], exec
	s_mov_b32 s90, 0
	s_waitcnt lgkmcnt(0)
	flat_load_dword v0, v[0:1] glc
	s_waitcnt vmcnt(0) lgkmcnt(0)
	buffer_wbinvl1_vol
	v_cmp_eq_u32_e32 vcc, 0, v0
	s_and_b64 s[78:79], vcc, exec
	s_or_b64 s[76:77], s[76:77], s[78:79]
	s_mov_b64 s[88:89], -1
	s_or_b64 s[74:75], s[74:75], exec
	s_and_saveexec_b64 s[78:79], s[76:77]
	s_cbranch_execz .LBB10_491
.LBB10_495:                             ;   in Loop: Header=BB10_492 Depth=2
	s_sleep 1
	s_trap 2
	ds_read_b64 v[0:1], v0
	s_waitcnt lgkmcnt(0)
	s_andn2_b64 s[74:75], s[74:75], exec
	v_cmp_ge_u64_e32 vcc, v[0:1], v[44:45]
	s_orn2_b64 s[88:89], vcc, exec
	s_branch .LBB10_491
.LBB10_496:                             ;   in Loop: Header=BB10_459 Depth=1
	s_or_b64 exec, exec, s[62:63]
	s_and_saveexec_b64 s[62:63], s[72:73]
	s_xor_b64 s[62:63], exec, s[62:63]
	s_cbranch_execz .LBB10_498
; %bb.497:                              ;   in Loop: Header=BB10_459 Depth=1
	v_mov_b32_e32 v0, 1
	ds_write_b32 v0, v0
	s_trap 2
.LBB10_498:                             ;   in Loop: Header=BB10_459 Depth=1
	s_or_b64 exec, exec, s[60:61]
	;;#ASMSTART
	s_wakeup
	;;#ASMEND
.LBB10_499:                             ;   in Loop: Header=BB10_459 Depth=1
	s_or_b64 exec, exec, s[58:59]
.LBB10_500:                             ;   in Loop: Header=BB10_459 Depth=1
	s_andn2_saveexec_b64 s[56:57], s[56:57]
	s_cbranch_execz .LBB10_502
; %bb.501:                              ;   in Loop: Header=BB10_459 Depth=1
	s_waitcnt vmcnt(0) lgkmcnt(0)
	buffer_wbinvl1_vol
	s_barrier
.LBB10_502:                             ;   in Loop: Header=BB10_459 Depth=1
	s_or_b64 exec, exec, s[56:57]
.LBB10_503:                             ;   in Loop: Header=BB10_459 Depth=1
	s_or_b64 exec, exec, s[18:19]
	s_trap 2
	ds_read_b32 v0, v0
	v_and_b32_e32 v1, 0x4000, v56
	v_cmp_ne_u32_e32 vcc, 0, v1
	s_and_b64 s[56:57], s[42:43], vcc
	s_and_saveexec_b64 s[18:19], s[56:57]
	s_cbranch_execz .LBB10_522
; %bb.504:                              ;   in Loop: Header=BB10_459 Depth=1
	s_and_saveexec_b64 s[56:57], s[28:29]
	s_xor_b64 s[56:57], exec, s[56:57]
	s_cbranch_execz .LBB10_519
; %bb.505:                              ;   in Loop: Header=BB10_459 Depth=1
	s_and_saveexec_b64 s[58:59], s[12:13]
	s_cbranch_execz .LBB10_518
; %bb.506:                              ;   in Loop: Header=BB10_459 Depth=1
	s_mov_b64 s[62:63], exec
	v_mbcnt_lo_u32_b32 v1, s62, 0
	v_mbcnt_hi_u32_b32 v1, s63, v1
	v_cmp_eq_u32_e32 vcc, 0, v1
	s_waitcnt vmcnt(0) lgkmcnt(0)
	buffer_wbinvl1_vol
	s_and_saveexec_b64 s[60:61], vcc
	s_cbranch_execz .LBB10_508
; %bb.507:                              ;   in Loop: Header=BB10_459 Depth=1
	s_bcnt1_i32_b64 s62, s[62:63]
	v_mov_b32_e32 v2, s62
	ds_add_u64 v0, v[2:3]
	s_trap 2
.LBB10_508:                             ;   in Loop: Header=BB10_459 Depth=1
	s_or_b64 exec, exec, s[60:61]
	s_trap 2
	ds_read_b64 v[1:2], v0
	s_waitcnt lgkmcnt(0)
	v_mov_b32_e32 v4, v44
	v_mov_b32_e32 v5, v45
	v_add_co_u32_e32 v4, vcc, v4, v57
	v_addc_co_u32_e32 v5, vcc, 0, v5, vcc
	v_mov_b32_e32 v45, v5
	v_cmp_lt_u64_e32 vcc, v[1:2], v[4:5]
	v_mov_b32_e32 v44, v4
	s_and_saveexec_b64 s[60:61], vcc
	s_cbranch_execz .LBB10_517
; %bb.509:                              ;   in Loop: Header=BB10_459 Depth=1
	s_mov_b32 s90, 0
	s_mov_b64 s[62:63], 0
                                        ; implicit-def: $sgpr72_sgpr73
                                        ; implicit-def: $sgpr74_sgpr75
	s_branch .LBB10_511
.LBB10_510:                             ;   in Loop: Header=BB10_511 Depth=2
	s_or_b64 exec, exec, s[78:79]
	s_and_b64 s[76:77], exec, s[88:89]
	s_or_b64 s[62:63], s[76:77], s[62:63]
	s_andn2_b64 s[72:73], s[72:73], exec
	s_and_b64 s[76:77], s[74:75], exec
	s_or_b64 s[72:73], s[72:73], s[76:77]
	s_andn2_b64 exec, exec, s[62:63]
	s_cbranch_execz .LBB10_515
.LBB10_511:                             ;   Parent Loop BB10_459 Depth=1
                                        ; =>  This Inner Loop Header: Depth=2
	s_add_i32 s90, s90, 1
	s_cmpk_lg_i32 s90, 0x2710
	s_cselect_b64 s[76:77], -1, 0
	s_and_b64 vcc, exec, s[76:77]
	s_cbranch_vccz .LBB10_513
; %bb.512:                              ;   in Loop: Header=BB10_511 Depth=2
	s_mov_b64 s[88:89], -1
	s_or_b64 s[74:75], s[74:75], exec
	s_and_saveexec_b64 s[78:79], s[76:77]
	s_cbranch_execz .LBB10_510
	s_branch .LBB10_514
.LBB10_513:                             ;   in Loop: Header=BB10_511 Depth=2
	s_trap 2
	ds_read_b64 v[1:2], v0
	s_andn2_b64 s[76:77], s[76:77], exec
	s_mov_b32 s90, 0
	s_waitcnt lgkmcnt(0)
	flat_load_dword v1, v[1:2] glc
	s_waitcnt vmcnt(0) lgkmcnt(0)
	buffer_wbinvl1_vol
	v_cmp_eq_u32_e32 vcc, 0, v1
	s_and_b64 s[78:79], vcc, exec
	s_or_b64 s[76:77], s[76:77], s[78:79]
	s_mov_b64 s[88:89], -1
	s_or_b64 s[74:75], s[74:75], exec
	s_and_saveexec_b64 s[78:79], s[76:77]
	s_cbranch_execz .LBB10_510
.LBB10_514:                             ;   in Loop: Header=BB10_511 Depth=2
	s_sleep 1
	s_trap 2
	ds_read_b64 v[1:2], v0
	s_waitcnt lgkmcnt(0)
	s_andn2_b64 s[74:75], s[74:75], exec
	v_cmp_ge_u64_e32 vcc, v[1:2], v[44:45]
	s_orn2_b64 s[88:89], vcc, exec
	s_branch .LBB10_510
.LBB10_515:                             ;   in Loop: Header=BB10_459 Depth=1
	s_or_b64 exec, exec, s[62:63]
	s_and_saveexec_b64 s[62:63], s[72:73]
	s_xor_b64 s[62:63], exec, s[62:63]
	s_cbranch_execz .LBB10_517
; %bb.516:                              ;   in Loop: Header=BB10_459 Depth=1
	v_mov_b32_e32 v1, 1
	ds_write_b32 v0, v1
	s_trap 2
.LBB10_517:                             ;   in Loop: Header=BB10_459 Depth=1
	s_or_b64 exec, exec, s[60:61]
	;;#ASMSTART
	s_wakeup
	;;#ASMEND
.LBB10_518:                             ;   in Loop: Header=BB10_459 Depth=1
	s_or_b64 exec, exec, s[58:59]
.LBB10_519:                             ;   in Loop: Header=BB10_459 Depth=1
	s_andn2_saveexec_b64 s[56:57], s[56:57]
	s_cbranch_execz .LBB10_521
; %bb.520:                              ;   in Loop: Header=BB10_459 Depth=1
	s_waitcnt vmcnt(0) lgkmcnt(0)
	buffer_wbinvl1_vol
	s_barrier
.LBB10_521:                             ;   in Loop: Header=BB10_459 Depth=1
	s_or_b64 exec, exec, s[56:57]
.LBB10_522:                             ;   in Loop: Header=BB10_459 Depth=1
	s_or_b64 exec, exec, s[18:19]
	s_trap 2
	s_waitcnt lgkmcnt(0)
	ds_read_b64 v[32:33], v0
	v_min_u32_e32 v43, v43, v60
	s_waitcnt lgkmcnt(0)
	v_cmp_eq_u64_e32 vcc, 0, v[32:33]
	s_cbranch_vccnz .LBB10_530
; %bb.523:                              ;   in Loop: Header=BB10_459 Depth=1
	s_trap 2
	ds_read_b64 v[1:2], v0
	s_waitcnt lgkmcnt(0)
	buffer_store_dword v1, off, s[0:3], s33 offset:128 ; 4-byte Folded Spill
	s_nop 0
	buffer_store_dword v2, off, s[0:3], s33 offset:132 ; 4-byte Folded Spill
	v_cmp_eq_u64_e32 vcc, 0, v[1:2]
	s_cbranch_vccnz .LBB10_530
; %bb.524:                              ;   in Loop: Header=BB10_459 Depth=1
	s_mov_b64 s[18:19], -1
	s_and_saveexec_b64 s[56:57], s[14:15]
	s_cbranch_execz .LBB10_526
; %bb.525:                              ;   in Loop: Header=BB10_459 Depth=1
	ds_read_b32 v1, v0 offset:720
	s_waitcnt lgkmcnt(0)
	v_and_b32_e32 v1, 15, v1
	v_cmp_eq_u32_e32 vcc, 0, v1
	s_orn2_b64 s[18:19], vcc, exec
.LBB10_526:                             ;   in Loop: Header=BB10_459 Depth=1
	s_or_b64 exec, exec, s[56:57]
	s_and_saveexec_b64 s[56:57], s[16:17]
	s_cbranch_execz .LBB10_528
; %bb.527:                              ;   in Loop: Header=BB10_459 Depth=1
	ds_read_b32 v1, v0 offset:784
	s_waitcnt lgkmcnt(0)
	v_and_b32_e32 v1, 15, v1
	v_cmp_eq_u32_e32 vcc, 0, v1
	s_and_b64 s[58:59], s[18:19], vcc
	s_andn2_b64 s[18:19], s[18:19], exec
	s_and_b64 s[58:59], s[58:59], exec
	s_or_b64 s[18:19], s[18:19], s[58:59]
.LBB10_528:                             ;   in Loop: Header=BB10_459 Depth=1
	s_or_b64 exec, exec, s[56:57]
	v_cmp_eq_u32_e32 vcc, 0, v0
	s_xor_b64 s[18:19], s[18:19], -1
	v_cndmask_b32_e32 v8, 0, v43, vcc
	v_cndmask_b32_e64 v0, 0, 1, s[18:19]
	v_lshlrev_b32_e32 v5, 1, v8
	s_mov_b64 s[58:59], -1
	v_cmp_ne_u32_e32 vcc, 0, v0
	v_mov_b32_e32 v14, 0
	s_cbranch_vccz .LBB10_531
; %bb.529:                              ;   in Loop: Header=BB10_459 Depth=1
	v_mov_b32_e32 v15, v42
	v_mov_b32_e32 v0, v29
	s_and_saveexec_b64 s[18:19], s[58:59]
	s_cbranch_execnz .LBB10_704
	s_branch .LBB10_780
.LBB10_530:                             ;   in Loop: Header=BB10_459 Depth=1
	s_mov_b64 s[18:19], 0
	s_and_saveexec_b64 s[56:57], s[10:11]
	s_cbranch_execnz .LBB10_781
	s_branch .LBB10_799
.LBB10_531:                             ;   in Loop: Header=BB10_459 Depth=1
	v_lshrrev_b32_e32 v0, 11, v8
	v_sub_u32_e32 v2, v0, v29
	v_cmp_lt_i32_e32 vcc, 0, v2
	s_and_saveexec_b64 s[18:19], vcc
	s_cbranch_execz .LBB10_663
; %bb.532:                              ;   in Loop: Header=BB10_459 Depth=1
	buffer_store_dword v0, off, s[0:3], s33 offset:188 ; 4-byte Folded Spill
	buffer_store_dword v5, off, s[0:3], s33 offset:144 ; 4-byte Folded Spill
	;; [unrolled: 1-line block ×3, first 2 shown]
	s_trap 2
	buffer_load_dword v4, off, s[0:3], s33 offset:196 ; 4-byte Folded Reload
	buffer_load_dword v5, off, s[0:3], s33 offset:200 ; 4-byte Folded Reload
	ds_read_b64 v[0:1], v0
	s_mov_b64 s[56:57], 0
	s_waitcnt vmcnt(1)
	v_add_co_u32_e32 v61, vcc, v32, v4
	buffer_store_dword v32, off, s[0:3], s33 offset:136 ; 4-byte Folded Spill
	s_nop 0
	buffer_store_dword v33, off, s[0:3], s33 offset:140 ; 4-byte Folded Spill
	s_waitcnt vmcnt(2)
	v_addc_co_u32_e32 v62, vcc, v33, v5, vcc
	s_waitcnt lgkmcnt(0)
	v_add_co_u32_e32 v52, vcc, v0, v4
	v_addc_co_u32_e32 v53, vcc, v1, v5, vcc
	buffer_load_dword v0, off, s[0:3], s33 offset:128 ; 4-byte Folded Reload
	buffer_load_dword v1, off, s[0:3], s33 offset:132 ; 4-byte Folded Reload
	s_waitcnt vmcnt(1)
	v_add_co_u32_e32 v0, vcc, v0, v4
	s_waitcnt vmcnt(0)
	v_addc_co_u32_e32 v1, vcc, v1, v5, vcc
	s_branch .LBB10_534
.LBB10_533:                             ;   in Loop: Header=BB10_534 Depth=2
	s_or_b64 exec, exec, s[58:59]
	v_lshrrev_b32_e32 v4, 16, v22
	v_and_or_b32 v5, v19, s34, v4
	v_lshrrev_b32_e32 v4, 16, v35
	v_lshrrev_b32_e32 v8, 16, v32
	v_and_or_b32 v4, v18, s34, v4
	v_and_or_b32 v18, v27, s34, v8
	v_lshrrev_b32_e32 v8, 16, v50
	v_and_or_b32 v17, v26, s34, v8
	v_lshrrev_b32_e32 v8, 16, v33
	v_lshrrev_b32_e32 v6, 16, v23
	v_and_or_b32 v19, v28, s34, v8
	v_lshrrev_b32_e32 v8, 16, v34
	v_and_or_b32 v6, v20, s34, v6
	v_and_or_b32 v20, v29, s34, v8
	v_lshrrev_b32_e32 v8, 16, v36
	v_lshrrev_b32_e32 v7, 16, v24
	v_and_or_b32 v22, v37, s34, v8
	v_lshrrev_b32_e32 v8, 16, v30
	v_and_or_b32 v7, v21, s34, v7
	v_and_or_b32 v21, v9, s34, v8
	v_lshrrev_b32_e32 v8, 16, v48
	v_and_or_b32 v23, v38, s34, v8
	v_lshrrev_b32_e32 v8, 16, v49
	;; [unrolled: 2-line block ×5, first 2 shown]
	v_lshrrev_b32_e32 v11, 16, v16
	v_and_or_b32 v10, v12, s34, v10
	v_and_or_b32 v11, v13, s34, v11
	global_store_dwordx4 v[0:1], v[21:24], off glc slc
	global_store_dwordx4 v[0:1], v[17:20], off offset:1024 glc slc
	global_store_dwordx4 v[0:1], v[4:7], off offset:2048 glc slc
	;; [unrolled: 1-line block ×3, first 2 shown]
	v_mov_b32_e32 v4, v31
	v_add_co_u32_e32 v61, vcc, v61, v4
	v_addc_co_u32_e32 v62, vcc, 0, v62, vcc
	v_add_co_u32_e32 v52, vcc, v52, v4
	v_addc_co_u32_e32 v53, vcc, 0, v53, vcc
	v_sub_u32_e32 v2, v2, v57
	v_cmp_gt_i32_e32 vcc, 1, v2
	s_or_b64 s[56:57], vcc, s[56:57]
	v_add_co_u32_e32 v0, vcc, v0, v4
	v_addc_co_u32_e32 v1, vcc, 0, v1, vcc
	s_andn2_b64 exec, exec, s[56:57]
	s_cbranch_execz .LBB10_662
.LBB10_534:                             ;   Parent Loop BB10_459 Depth=1
                                        ; =>  This Inner Loop Header: Depth=2
	global_load_dwordx4 v[36:39], v[61:62], off glc slc
	global_load_dwordx4 v[26:29], v[61:62], off offset:1024 glc slc
	global_load_dwordx4 v[48:51], v[52:53], off glc slc
	global_load_dwordx4 v[18:21], v[61:62], off offset:2048 glc slc
	global_load_dwordx4 v[10:13], v[61:62], off offset:3072 glc slc
	;; [unrolled: 1-line block ×5, first 2 shown]
                                        ; implicit-def: $vgpr30
	s_waitcnt vmcnt(7)
	v_lshlrev_b32_e32 v4, 16, v36
	s_waitcnt vmcnt(5)
	v_lshlrev_b32_e32 v5, 16, v48
	v_add_f32_e32 v5, v4, v5
	v_and_b32_e32 v4, 0x7f800000, v5
	v_cmp_ne_u32_e32 vcc, s95, v4
	s_and_saveexec_b64 s[58:59], vcc
	s_xor_b64 s[58:59], exec, s[58:59]
; %bb.535:                              ;   in Loop: Header=BB10_534 Depth=2
	v_bfe_u32 v4, v5, 16, 1
	v_add3_u32 v30, v5, v4, s31
                                        ; implicit-def: $vgpr5
; %bb.536:                              ;   in Loop: Header=BB10_534 Depth=2
	s_andn2_saveexec_b64 s[58:59], s[58:59]
; %bb.537:                              ;   in Loop: Header=BB10_534 Depth=2
	v_or_b32_e32 v4, 0x10000, v5
	v_cmp_eq_u32_sdwa vcc, v5, v3 src0_sel:WORD_0 src1_sel:DWORD
	v_cndmask_b32_e32 v30, v4, v5, vcc
; %bb.538:                              ;   in Loop: Header=BB10_534 Depth=2
	s_or_b64 exec, exec, s[58:59]
	v_and_b32_e32 v4, 0xffff0000, v36
	v_and_b32_e32 v5, 0xffff0000, v48
	v_add_f32_e32 v36, v4, v5
	v_and_b32_e32 v4, 0x7f800000, v36
	v_cmp_ne_u32_e32 vcc, s95, v4
                                        ; implicit-def: $vgpr9
	s_and_saveexec_b64 s[58:59], vcc
	s_xor_b64 s[58:59], exec, s[58:59]
; %bb.539:                              ;   in Loop: Header=BB10_534 Depth=2
	v_bfe_u32 v4, v36, 16, 1
	v_add3_u32 v9, v36, v4, s31
                                        ; implicit-def: $vgpr36
; %bb.540:                              ;   in Loop: Header=BB10_534 Depth=2
	s_andn2_saveexec_b64 s[58:59], s[58:59]
; %bb.541:                              ;   in Loop: Header=BB10_534 Depth=2
	v_or_b32_e32 v4, 0x10000, v36
	v_cmp_eq_u32_sdwa vcc, v36, v3 src0_sel:WORD_0 src1_sel:DWORD
	v_cndmask_b32_e32 v9, v4, v36, vcc
; %bb.542:                              ;   in Loop: Header=BB10_534 Depth=2
	s_or_b64 exec, exec, s[58:59]
	v_lshlrev_b32_e32 v4, 16, v37
	v_lshlrev_b32_e32 v5, 16, v49
	v_add_f32_e32 v48, v4, v5
	v_and_b32_e32 v4, 0x7f800000, v48
	v_cmp_ne_u32_e32 vcc, s95, v4
                                        ; implicit-def: $vgpr36
	s_and_saveexec_b64 s[58:59], vcc
	s_xor_b64 s[58:59], exec, s[58:59]
; %bb.543:                              ;   in Loop: Header=BB10_534 Depth=2
	v_bfe_u32 v4, v48, 16, 1
	v_add3_u32 v36, v48, v4, s31
                                        ; implicit-def: $vgpr48
; %bb.544:                              ;   in Loop: Header=BB10_534 Depth=2
	s_andn2_saveexec_b64 s[58:59], s[58:59]
; %bb.545:                              ;   in Loop: Header=BB10_534 Depth=2
	v_or_b32_e32 v4, 0x10000, v48
	v_cmp_eq_u32_sdwa vcc, v48, v3 src0_sel:WORD_0 src1_sel:DWORD
	v_cndmask_b32_e32 v36, v4, v48, vcc
; %bb.546:                              ;   in Loop: Header=BB10_534 Depth=2
	s_or_b64 exec, exec, s[58:59]
	v_and_b32_e32 v4, 0xffff0000, v37
	v_and_b32_e32 v5, 0xffff0000, v49
	v_add_f32_e32 v48, v4, v5
	v_and_b32_e32 v4, 0x7f800000, v48
	v_cmp_ne_u32_e32 vcc, s95, v4
                                        ; implicit-def: $vgpr37
	s_and_saveexec_b64 s[58:59], vcc
	s_xor_b64 s[58:59], exec, s[58:59]
; %bb.547:                              ;   in Loop: Header=BB10_534 Depth=2
	v_bfe_u32 v4, v48, 16, 1
	v_add3_u32 v37, v48, v4, s31
                                        ; implicit-def: $vgpr48
; %bb.548:                              ;   in Loop: Header=BB10_534 Depth=2
	s_andn2_saveexec_b64 s[58:59], s[58:59]
; %bb.549:                              ;   in Loop: Header=BB10_534 Depth=2
	v_or_b32_e32 v4, 0x10000, v48
	v_cmp_eq_u32_sdwa vcc, v48, v3 src0_sel:WORD_0 src1_sel:DWORD
	v_cndmask_b32_e32 v37, v4, v48, vcc
; %bb.550:                              ;   in Loop: Header=BB10_534 Depth=2
	s_or_b64 exec, exec, s[58:59]
	v_lshlrev_b32_e32 v4, 16, v38
	v_lshlrev_b32_e32 v5, 16, v50
	v_add_f32_e32 v49, v4, v5
	v_and_b32_e32 v4, 0x7f800000, v49
	v_cmp_ne_u32_e32 vcc, s95, v4
                                        ; implicit-def: $vgpr48
	s_and_saveexec_b64 s[58:59], vcc
	s_xor_b64 s[58:59], exec, s[58:59]
; %bb.551:                              ;   in Loop: Header=BB10_534 Depth=2
	v_bfe_u32 v4, v49, 16, 1
	v_add3_u32 v48, v49, v4, s31
                                        ; implicit-def: $vgpr49
; %bb.552:                              ;   in Loop: Header=BB10_534 Depth=2
	s_andn2_saveexec_b64 s[58:59], s[58:59]
; %bb.553:                              ;   in Loop: Header=BB10_534 Depth=2
	v_or_b32_e32 v4, 0x10000, v49
	v_cmp_eq_u32_sdwa vcc, v49, v3 src0_sel:WORD_0 src1_sel:DWORD
	v_cndmask_b32_e32 v48, v4, v49, vcc
; %bb.554:                              ;   in Loop: Header=BB10_534 Depth=2
	s_or_b64 exec, exec, s[58:59]
	v_and_b32_e32 v4, 0xffff0000, v38
	v_and_b32_e32 v5, 0xffff0000, v50
	v_add_f32_e32 v49, v4, v5
	v_and_b32_e32 v4, 0x7f800000, v49
	v_cmp_ne_u32_e32 vcc, s95, v4
                                        ; implicit-def: $vgpr38
	s_and_saveexec_b64 s[58:59], vcc
	s_xor_b64 s[58:59], exec, s[58:59]
; %bb.555:                              ;   in Loop: Header=BB10_534 Depth=2
	v_bfe_u32 v4, v49, 16, 1
	v_add3_u32 v38, v49, v4, s31
                                        ; implicit-def: $vgpr49
; %bb.556:                              ;   in Loop: Header=BB10_534 Depth=2
	s_andn2_saveexec_b64 s[58:59], s[58:59]
; %bb.557:                              ;   in Loop: Header=BB10_534 Depth=2
	v_or_b32_e32 v4, 0x10000, v49
	v_cmp_eq_u32_sdwa vcc, v49, v3 src0_sel:WORD_0 src1_sel:DWORD
	v_cndmask_b32_e32 v38, v4, v49, vcc
; %bb.558:                              ;   in Loop: Header=BB10_534 Depth=2
	s_or_b64 exec, exec, s[58:59]
	v_lshlrev_b32_e32 v4, 16, v39
	v_lshlrev_b32_e32 v5, 16, v51
	v_add_f32_e32 v50, v4, v5
	v_and_b32_e32 v4, 0x7f800000, v50
	v_cmp_ne_u32_e32 vcc, s95, v4
                                        ; implicit-def: $vgpr49
	s_and_saveexec_b64 s[58:59], vcc
	s_xor_b64 s[58:59], exec, s[58:59]
; %bb.559:                              ;   in Loop: Header=BB10_534 Depth=2
	v_bfe_u32 v4, v50, 16, 1
	v_add3_u32 v49, v50, v4, s31
                                        ; implicit-def: $vgpr50
; %bb.560:                              ;   in Loop: Header=BB10_534 Depth=2
	s_andn2_saveexec_b64 s[58:59], s[58:59]
; %bb.561:                              ;   in Loop: Header=BB10_534 Depth=2
	v_or_b32_e32 v4, 0x10000, v50
	v_cmp_eq_u32_sdwa vcc, v50, v3 src0_sel:WORD_0 src1_sel:DWORD
	v_cndmask_b32_e32 v49, v4, v50, vcc
; %bb.562:                              ;   in Loop: Header=BB10_534 Depth=2
	s_or_b64 exec, exec, s[58:59]
	v_and_b32_e32 v4, 0xffff0000, v39
	v_and_b32_e32 v5, 0xffff0000, v51
	v_add_f32_e32 v50, v4, v5
	v_and_b32_e32 v4, 0x7f800000, v50
	v_cmp_ne_u32_e32 vcc, s95, v4
                                        ; implicit-def: $vgpr39
	s_and_saveexec_b64 s[58:59], vcc
	s_xor_b64 s[58:59], exec, s[58:59]
; %bb.563:                              ;   in Loop: Header=BB10_534 Depth=2
	v_bfe_u32 v4, v50, 16, 1
	v_add3_u32 v39, v50, v4, s31
                                        ; implicit-def: $vgpr50
; %bb.564:                              ;   in Loop: Header=BB10_534 Depth=2
	s_andn2_saveexec_b64 s[58:59], s[58:59]
; %bb.565:                              ;   in Loop: Header=BB10_534 Depth=2
	v_or_b32_e32 v4, 0x10000, v50
	v_cmp_eq_u32_sdwa vcc, v50, v3 src0_sel:WORD_0 src1_sel:DWORD
	v_cndmask_b32_e32 v39, v4, v50, vcc
; %bb.566:                              ;   in Loop: Header=BB10_534 Depth=2
	s_or_b64 exec, exec, s[58:59]
	v_lshlrev_b32_e32 v4, 16, v26
	s_waitcnt vmcnt(2)
	v_lshlrev_b32_e32 v5, 16, v32
	v_add_f32_e32 v51, v4, v5
	v_and_b32_e32 v4, 0x7f800000, v51
	v_cmp_ne_u32_e32 vcc, s95, v4
                                        ; implicit-def: $vgpr50
	s_and_saveexec_b64 s[58:59], vcc
	s_xor_b64 s[58:59], exec, s[58:59]
; %bb.567:                              ;   in Loop: Header=BB10_534 Depth=2
	v_bfe_u32 v4, v51, 16, 1
	v_add3_u32 v50, v51, v4, s31
                                        ; implicit-def: $vgpr51
; %bb.568:                              ;   in Loop: Header=BB10_534 Depth=2
	s_andn2_saveexec_b64 s[58:59], s[58:59]
; %bb.569:                              ;   in Loop: Header=BB10_534 Depth=2
	v_or_b32_e32 v4, 0x10000, v51
	v_cmp_eq_u32_sdwa vcc, v51, v3 src0_sel:WORD_0 src1_sel:DWORD
	v_cndmask_b32_e32 v50, v4, v51, vcc
; %bb.570:                              ;   in Loop: Header=BB10_534 Depth=2
	s_or_b64 exec, exec, s[58:59]
	v_and_b32_e32 v4, 0xffff0000, v26
	v_and_b32_e32 v5, 0xffff0000, v32
	v_add_f32_e32 v32, v4, v5
	v_and_b32_e32 v4, 0x7f800000, v32
	v_cmp_ne_u32_e32 vcc, s95, v4
                                        ; implicit-def: $vgpr26
	s_and_saveexec_b64 s[58:59], vcc
	s_xor_b64 s[58:59], exec, s[58:59]
; %bb.571:                              ;   in Loop: Header=BB10_534 Depth=2
	v_bfe_u32 v4, v32, 16, 1
	v_add3_u32 v26, v32, v4, s31
                                        ; implicit-def: $vgpr32
; %bb.572:                              ;   in Loop: Header=BB10_534 Depth=2
	s_andn2_saveexec_b64 s[58:59], s[58:59]
; %bb.573:                              ;   in Loop: Header=BB10_534 Depth=2
	v_or_b32_e32 v4, 0x10000, v32
	v_cmp_eq_u32_sdwa vcc, v32, v3 src0_sel:WORD_0 src1_sel:DWORD
	v_cndmask_b32_e32 v26, v4, v32, vcc
; %bb.574:                              ;   in Loop: Header=BB10_534 Depth=2
	s_or_b64 exec, exec, s[58:59]
	v_lshlrev_b32_e32 v4, 16, v27
	v_lshlrev_b32_e32 v5, 16, v33
	v_add_f32_e32 v51, v4, v5
	v_and_b32_e32 v4, 0x7f800000, v51
	v_cmp_ne_u32_e32 vcc, s95, v4
                                        ; implicit-def: $vgpr32
	s_and_saveexec_b64 s[58:59], vcc
	s_xor_b64 s[58:59], exec, s[58:59]
; %bb.575:                              ;   in Loop: Header=BB10_534 Depth=2
	v_bfe_u32 v4, v51, 16, 1
	v_add3_u32 v32, v51, v4, s31
                                        ; implicit-def: $vgpr51
; %bb.576:                              ;   in Loop: Header=BB10_534 Depth=2
	s_andn2_saveexec_b64 s[58:59], s[58:59]
; %bb.577:                              ;   in Loop: Header=BB10_534 Depth=2
	v_or_b32_e32 v4, 0x10000, v51
	v_cmp_eq_u32_sdwa vcc, v51, v3 src0_sel:WORD_0 src1_sel:DWORD
	v_cndmask_b32_e32 v32, v4, v51, vcc
; %bb.578:                              ;   in Loop: Header=BB10_534 Depth=2
	s_or_b64 exec, exec, s[58:59]
	v_and_b32_e32 v4, 0xffff0000, v27
	v_and_b32_e32 v5, 0xffff0000, v33
	v_add_f32_e32 v33, v4, v5
	v_and_b32_e32 v4, 0x7f800000, v33
	v_cmp_ne_u32_e32 vcc, s95, v4
                                        ; implicit-def: $vgpr27
	s_and_saveexec_b64 s[58:59], vcc
	s_xor_b64 s[58:59], exec, s[58:59]
; %bb.579:                              ;   in Loop: Header=BB10_534 Depth=2
	v_bfe_u32 v4, v33, 16, 1
	v_add3_u32 v27, v33, v4, s31
                                        ; implicit-def: $vgpr33
; %bb.580:                              ;   in Loop: Header=BB10_534 Depth=2
	s_andn2_saveexec_b64 s[58:59], s[58:59]
; %bb.581:                              ;   in Loop: Header=BB10_534 Depth=2
	v_or_b32_e32 v4, 0x10000, v33
	v_cmp_eq_u32_sdwa vcc, v33, v3 src0_sel:WORD_0 src1_sel:DWORD
	v_cndmask_b32_e32 v27, v4, v33, vcc
; %bb.582:                              ;   in Loop: Header=BB10_534 Depth=2
	s_or_b64 exec, exec, s[58:59]
	v_lshlrev_b32_e32 v4, 16, v28
	v_lshlrev_b32_e32 v5, 16, v34
	v_add_f32_e32 v51, v4, v5
	v_and_b32_e32 v4, 0x7f800000, v51
	v_cmp_ne_u32_e32 vcc, s95, v4
                                        ; implicit-def: $vgpr33
	s_and_saveexec_b64 s[58:59], vcc
	s_xor_b64 s[58:59], exec, s[58:59]
; %bb.583:                              ;   in Loop: Header=BB10_534 Depth=2
	v_bfe_u32 v4, v51, 16, 1
	v_add3_u32 v33, v51, v4, s31
                                        ; implicit-def: $vgpr51
; %bb.584:                              ;   in Loop: Header=BB10_534 Depth=2
	s_andn2_saveexec_b64 s[58:59], s[58:59]
; %bb.585:                              ;   in Loop: Header=BB10_534 Depth=2
	v_or_b32_e32 v4, 0x10000, v51
	v_cmp_eq_u32_sdwa vcc, v51, v3 src0_sel:WORD_0 src1_sel:DWORD
	v_cndmask_b32_e32 v33, v4, v51, vcc
; %bb.586:                              ;   in Loop: Header=BB10_534 Depth=2
	s_or_b64 exec, exec, s[58:59]
	v_and_b32_e32 v4, 0xffff0000, v28
	v_and_b32_e32 v5, 0xffff0000, v34
	v_add_f32_e32 v34, v4, v5
	v_and_b32_e32 v4, 0x7f800000, v34
	v_cmp_ne_u32_e32 vcc, s95, v4
                                        ; implicit-def: $vgpr28
	s_and_saveexec_b64 s[58:59], vcc
	s_xor_b64 s[58:59], exec, s[58:59]
; %bb.587:                              ;   in Loop: Header=BB10_534 Depth=2
	v_bfe_u32 v4, v34, 16, 1
	v_add3_u32 v28, v34, v4, s31
                                        ; implicit-def: $vgpr34
; %bb.588:                              ;   in Loop: Header=BB10_534 Depth=2
	s_andn2_saveexec_b64 s[58:59], s[58:59]
; %bb.589:                              ;   in Loop: Header=BB10_534 Depth=2
	v_or_b32_e32 v4, 0x10000, v34
	v_cmp_eq_u32_sdwa vcc, v34, v3 src0_sel:WORD_0 src1_sel:DWORD
	v_cndmask_b32_e32 v28, v4, v34, vcc
; %bb.590:                              ;   in Loop: Header=BB10_534 Depth=2
	s_or_b64 exec, exec, s[58:59]
	v_lshlrev_b32_e32 v4, 16, v29
	v_lshlrev_b32_e32 v5, 16, v35
	v_add_f32_e32 v51, v4, v5
	v_and_b32_e32 v4, 0x7f800000, v51
	v_cmp_ne_u32_e32 vcc, s95, v4
                                        ; implicit-def: $vgpr34
	s_and_saveexec_b64 s[58:59], vcc
	s_xor_b64 s[58:59], exec, s[58:59]
; %bb.591:                              ;   in Loop: Header=BB10_534 Depth=2
	v_bfe_u32 v4, v51, 16, 1
	v_add3_u32 v34, v51, v4, s31
                                        ; implicit-def: $vgpr51
; %bb.592:                              ;   in Loop: Header=BB10_534 Depth=2
	s_andn2_saveexec_b64 s[58:59], s[58:59]
; %bb.593:                              ;   in Loop: Header=BB10_534 Depth=2
	v_or_b32_e32 v4, 0x10000, v51
	v_cmp_eq_u32_sdwa vcc, v51, v3 src0_sel:WORD_0 src1_sel:DWORD
	v_cndmask_b32_e32 v34, v4, v51, vcc
; %bb.594:                              ;   in Loop: Header=BB10_534 Depth=2
	s_or_b64 exec, exec, s[58:59]
	v_and_b32_e32 v4, 0xffff0000, v29
	v_and_b32_e32 v5, 0xffff0000, v35
	v_add_f32_e32 v35, v4, v5
	v_and_b32_e32 v4, 0x7f800000, v35
	v_cmp_ne_u32_e32 vcc, s95, v4
                                        ; implicit-def: $vgpr29
	s_and_saveexec_b64 s[58:59], vcc
	s_xor_b64 s[58:59], exec, s[58:59]
; %bb.595:                              ;   in Loop: Header=BB10_534 Depth=2
	v_bfe_u32 v4, v35, 16, 1
	v_add3_u32 v29, v35, v4, s31
                                        ; implicit-def: $vgpr35
; %bb.596:                              ;   in Loop: Header=BB10_534 Depth=2
	s_andn2_saveexec_b64 s[58:59], s[58:59]
; %bb.597:                              ;   in Loop: Header=BB10_534 Depth=2
	v_or_b32_e32 v4, 0x10000, v35
	v_cmp_eq_u32_sdwa vcc, v35, v3 src0_sel:WORD_0 src1_sel:DWORD
	v_cndmask_b32_e32 v29, v4, v35, vcc
; %bb.598:                              ;   in Loop: Header=BB10_534 Depth=2
	s_or_b64 exec, exec, s[58:59]
	v_lshlrev_b32_e32 v4, 16, v18
	s_waitcnt vmcnt(1)
	v_lshlrev_b32_e32 v5, 16, v22
	v_add_f32_e32 v51, v4, v5
	v_and_b32_e32 v4, 0x7f800000, v51
	v_cmp_ne_u32_e32 vcc, s95, v4
                                        ; implicit-def: $vgpr35
	s_and_saveexec_b64 s[58:59], vcc
	s_xor_b64 s[58:59], exec, s[58:59]
; %bb.599:                              ;   in Loop: Header=BB10_534 Depth=2
	v_bfe_u32 v4, v51, 16, 1
	v_add3_u32 v35, v51, v4, s31
                                        ; implicit-def: $vgpr51
; %bb.600:                              ;   in Loop: Header=BB10_534 Depth=2
	s_andn2_saveexec_b64 s[58:59], s[58:59]
; %bb.601:                              ;   in Loop: Header=BB10_534 Depth=2
	v_or_b32_e32 v4, 0x10000, v51
	v_cmp_eq_u32_sdwa vcc, v51, v3 src0_sel:WORD_0 src1_sel:DWORD
	v_cndmask_b32_e32 v35, v4, v51, vcc
; %bb.602:                              ;   in Loop: Header=BB10_534 Depth=2
	s_or_b64 exec, exec, s[58:59]
	v_and_b32_e32 v4, 0xffff0000, v18
	v_and_b32_e32 v5, 0xffff0000, v22
	v_add_f32_e32 v22, v4, v5
	v_and_b32_e32 v4, 0x7f800000, v22
	v_cmp_ne_u32_e32 vcc, s95, v4
                                        ; implicit-def: $vgpr18
	s_and_saveexec_b64 s[58:59], vcc
	s_xor_b64 s[58:59], exec, s[58:59]
; %bb.603:                              ;   in Loop: Header=BB10_534 Depth=2
	v_bfe_u32 v4, v22, 16, 1
	v_add3_u32 v18, v22, v4, s31
                                        ; implicit-def: $vgpr22
; %bb.604:                              ;   in Loop: Header=BB10_534 Depth=2
	s_andn2_saveexec_b64 s[58:59], s[58:59]
; %bb.605:                              ;   in Loop: Header=BB10_534 Depth=2
	v_or_b32_e32 v4, 0x10000, v22
	v_cmp_eq_u32_sdwa vcc, v22, v3 src0_sel:WORD_0 src1_sel:DWORD
	v_cndmask_b32_e32 v18, v4, v22, vcc
; %bb.606:                              ;   in Loop: Header=BB10_534 Depth=2
	s_or_b64 exec, exec, s[58:59]
	v_lshlrev_b32_e32 v4, 16, v19
	v_lshlrev_b32_e32 v5, 16, v23
	v_add_f32_e32 v51, v4, v5
	v_and_b32_e32 v4, 0x7f800000, v51
	v_cmp_ne_u32_e32 vcc, s95, v4
                                        ; implicit-def: $vgpr22
	s_and_saveexec_b64 s[58:59], vcc
	s_xor_b64 s[58:59], exec, s[58:59]
; %bb.607:                              ;   in Loop: Header=BB10_534 Depth=2
	v_bfe_u32 v4, v51, 16, 1
	v_add3_u32 v22, v51, v4, s31
                                        ; implicit-def: $vgpr51
; %bb.608:                              ;   in Loop: Header=BB10_534 Depth=2
	s_andn2_saveexec_b64 s[58:59], s[58:59]
; %bb.609:                              ;   in Loop: Header=BB10_534 Depth=2
	v_or_b32_e32 v4, 0x10000, v51
	v_cmp_eq_u32_sdwa vcc, v51, v3 src0_sel:WORD_0 src1_sel:DWORD
	v_cndmask_b32_e32 v22, v4, v51, vcc
; %bb.610:                              ;   in Loop: Header=BB10_534 Depth=2
	s_or_b64 exec, exec, s[58:59]
	v_and_b32_e32 v4, 0xffff0000, v19
	v_and_b32_e32 v5, 0xffff0000, v23
	v_add_f32_e32 v23, v4, v5
	v_and_b32_e32 v4, 0x7f800000, v23
	v_cmp_ne_u32_e32 vcc, s95, v4
                                        ; implicit-def: $vgpr19
	s_and_saveexec_b64 s[58:59], vcc
	s_xor_b64 s[58:59], exec, s[58:59]
; %bb.611:                              ;   in Loop: Header=BB10_534 Depth=2
	v_bfe_u32 v4, v23, 16, 1
	v_add3_u32 v19, v23, v4, s31
                                        ; implicit-def: $vgpr23
; %bb.612:                              ;   in Loop: Header=BB10_534 Depth=2
	s_andn2_saveexec_b64 s[58:59], s[58:59]
; %bb.613:                              ;   in Loop: Header=BB10_534 Depth=2
	v_or_b32_e32 v4, 0x10000, v23
	v_cmp_eq_u32_sdwa vcc, v23, v3 src0_sel:WORD_0 src1_sel:DWORD
	v_cndmask_b32_e32 v19, v4, v23, vcc
; %bb.614:                              ;   in Loop: Header=BB10_534 Depth=2
	s_or_b64 exec, exec, s[58:59]
	v_lshlrev_b32_e32 v4, 16, v20
	v_lshlrev_b32_e32 v5, 16, v24
	v_add_f32_e32 v51, v4, v5
	v_and_b32_e32 v4, 0x7f800000, v51
	v_cmp_ne_u32_e32 vcc, s95, v4
                                        ; implicit-def: $vgpr23
	s_and_saveexec_b64 s[58:59], vcc
	s_xor_b64 s[58:59], exec, s[58:59]
; %bb.615:                              ;   in Loop: Header=BB10_534 Depth=2
	v_bfe_u32 v4, v51, 16, 1
	v_add3_u32 v23, v51, v4, s31
                                        ; implicit-def: $vgpr51
; %bb.616:                              ;   in Loop: Header=BB10_534 Depth=2
	s_andn2_saveexec_b64 s[58:59], s[58:59]
; %bb.617:                              ;   in Loop: Header=BB10_534 Depth=2
	v_or_b32_e32 v4, 0x10000, v51
	v_cmp_eq_u32_sdwa vcc, v51, v3 src0_sel:WORD_0 src1_sel:DWORD
	v_cndmask_b32_e32 v23, v4, v51, vcc
; %bb.618:                              ;   in Loop: Header=BB10_534 Depth=2
	s_or_b64 exec, exec, s[58:59]
	v_and_b32_e32 v4, 0xffff0000, v20
	v_and_b32_e32 v5, 0xffff0000, v24
	v_add_f32_e32 v24, v4, v5
	v_and_b32_e32 v4, 0x7f800000, v24
	v_cmp_ne_u32_e32 vcc, s95, v4
                                        ; implicit-def: $vgpr20
	s_and_saveexec_b64 s[58:59], vcc
	s_xor_b64 s[58:59], exec, s[58:59]
; %bb.619:                              ;   in Loop: Header=BB10_534 Depth=2
	v_bfe_u32 v4, v24, 16, 1
	v_add3_u32 v20, v24, v4, s31
                                        ; implicit-def: $vgpr24
; %bb.620:                              ;   in Loop: Header=BB10_534 Depth=2
	s_andn2_saveexec_b64 s[58:59], s[58:59]
; %bb.621:                              ;   in Loop: Header=BB10_534 Depth=2
	v_or_b32_e32 v4, 0x10000, v24
	v_cmp_eq_u32_sdwa vcc, v24, v3 src0_sel:WORD_0 src1_sel:DWORD
	v_cndmask_b32_e32 v20, v4, v24, vcc
; %bb.622:                              ;   in Loop: Header=BB10_534 Depth=2
	s_or_b64 exec, exec, s[58:59]
	v_lshlrev_b32_e32 v4, 16, v21
	v_lshlrev_b32_e32 v5, 16, v25
	v_add_f32_e32 v51, v4, v5
	v_and_b32_e32 v4, 0x7f800000, v51
	v_cmp_ne_u32_e32 vcc, s95, v4
                                        ; implicit-def: $vgpr24
	s_and_saveexec_b64 s[58:59], vcc
	s_xor_b64 s[58:59], exec, s[58:59]
; %bb.623:                              ;   in Loop: Header=BB10_534 Depth=2
	v_bfe_u32 v4, v51, 16, 1
	v_add3_u32 v24, v51, v4, s31
                                        ; implicit-def: $vgpr51
; %bb.624:                              ;   in Loop: Header=BB10_534 Depth=2
	s_andn2_saveexec_b64 s[58:59], s[58:59]
; %bb.625:                              ;   in Loop: Header=BB10_534 Depth=2
	v_or_b32_e32 v4, 0x10000, v51
	v_cmp_eq_u32_sdwa vcc, v51, v3 src0_sel:WORD_0 src1_sel:DWORD
	v_cndmask_b32_e32 v24, v4, v51, vcc
; %bb.626:                              ;   in Loop: Header=BB10_534 Depth=2
	s_or_b64 exec, exec, s[58:59]
	v_and_b32_e32 v4, 0xffff0000, v21
	v_and_b32_e32 v5, 0xffff0000, v25
	v_add_f32_e32 v25, v4, v5
	v_and_b32_e32 v4, 0x7f800000, v25
	v_cmp_ne_u32_e32 vcc, s95, v4
                                        ; implicit-def: $vgpr21
	s_and_saveexec_b64 s[58:59], vcc
	s_xor_b64 s[58:59], exec, s[58:59]
; %bb.627:                              ;   in Loop: Header=BB10_534 Depth=2
	v_bfe_u32 v4, v25, 16, 1
	v_add3_u32 v21, v25, v4, s31
                                        ; implicit-def: $vgpr25
; %bb.628:                              ;   in Loop: Header=BB10_534 Depth=2
	s_andn2_saveexec_b64 s[58:59], s[58:59]
; %bb.629:                              ;   in Loop: Header=BB10_534 Depth=2
	v_or_b32_e32 v4, 0x10000, v25
	v_cmp_eq_u32_sdwa vcc, v25, v3 src0_sel:WORD_0 src1_sel:DWORD
	v_cndmask_b32_e32 v21, v4, v25, vcc
; %bb.630:                              ;   in Loop: Header=BB10_534 Depth=2
	s_or_b64 exec, exec, s[58:59]
	v_lshlrev_b32_e32 v4, 16, v10
	s_waitcnt vmcnt(0)
	v_lshlrev_b32_e32 v5, 16, v14
	v_add_f32_e32 v51, v4, v5
	v_and_b32_e32 v4, 0x7f800000, v51
	v_cmp_ne_u32_e32 vcc, s95, v4
                                        ; implicit-def: $vgpr25
	s_and_saveexec_b64 s[58:59], vcc
	s_xor_b64 s[58:59], exec, s[58:59]
; %bb.631:                              ;   in Loop: Header=BB10_534 Depth=2
	v_bfe_u32 v4, v51, 16, 1
	v_add3_u32 v25, v51, v4, s31
                                        ; implicit-def: $vgpr51
; %bb.632:                              ;   in Loop: Header=BB10_534 Depth=2
	s_andn2_saveexec_b64 s[58:59], s[58:59]
; %bb.633:                              ;   in Loop: Header=BB10_534 Depth=2
	v_or_b32_e32 v4, 0x10000, v51
	v_cmp_eq_u32_sdwa vcc, v51, v3 src0_sel:WORD_0 src1_sel:DWORD
	v_cndmask_b32_e32 v25, v4, v51, vcc
; %bb.634:                              ;   in Loop: Header=BB10_534 Depth=2
	s_or_b64 exec, exec, s[58:59]
	v_and_b32_e32 v4, 0xffff0000, v10
	v_and_b32_e32 v5, 0xffff0000, v14
	v_add_f32_e32 v14, v4, v5
	v_and_b32_e32 v4, 0x7f800000, v14
	v_cmp_ne_u32_e32 vcc, s95, v4
                                        ; implicit-def: $vgpr10
	s_and_saveexec_b64 s[58:59], vcc
	s_xor_b64 s[58:59], exec, s[58:59]
; %bb.635:                              ;   in Loop: Header=BB10_534 Depth=2
	v_bfe_u32 v4, v14, 16, 1
	v_add3_u32 v10, v14, v4, s31
                                        ; implicit-def: $vgpr14
; %bb.636:                              ;   in Loop: Header=BB10_534 Depth=2
	s_andn2_saveexec_b64 s[58:59], s[58:59]
; %bb.637:                              ;   in Loop: Header=BB10_534 Depth=2
	v_or_b32_e32 v4, 0x10000, v14
	v_cmp_eq_u32_sdwa vcc, v14, v3 src0_sel:WORD_0 src1_sel:DWORD
	v_cndmask_b32_e32 v10, v4, v14, vcc
; %bb.638:                              ;   in Loop: Header=BB10_534 Depth=2
	s_or_b64 exec, exec, s[58:59]
	v_lshlrev_b32_e32 v4, 16, v11
	v_lshlrev_b32_e32 v5, 16, v15
	v_add_f32_e32 v51, v4, v5
	v_and_b32_e32 v4, 0x7f800000, v51
	v_cmp_ne_u32_e32 vcc, s95, v4
                                        ; implicit-def: $vgpr14
	s_and_saveexec_b64 s[58:59], vcc
	s_xor_b64 s[58:59], exec, s[58:59]
; %bb.639:                              ;   in Loop: Header=BB10_534 Depth=2
	v_bfe_u32 v4, v51, 16, 1
	v_add3_u32 v14, v51, v4, s31
                                        ; implicit-def: $vgpr51
; %bb.640:                              ;   in Loop: Header=BB10_534 Depth=2
	s_andn2_saveexec_b64 s[58:59], s[58:59]
; %bb.641:                              ;   in Loop: Header=BB10_534 Depth=2
	v_or_b32_e32 v4, 0x10000, v51
	v_cmp_eq_u32_sdwa vcc, v51, v3 src0_sel:WORD_0 src1_sel:DWORD
	v_cndmask_b32_e32 v14, v4, v51, vcc
; %bb.642:                              ;   in Loop: Header=BB10_534 Depth=2
	s_or_b64 exec, exec, s[58:59]
	v_and_b32_e32 v4, 0xffff0000, v11
	v_and_b32_e32 v5, 0xffff0000, v15
	v_add_f32_e32 v15, v4, v5
	v_and_b32_e32 v4, 0x7f800000, v15
	v_cmp_ne_u32_e32 vcc, s95, v4
                                        ; implicit-def: $vgpr11
	s_and_saveexec_b64 s[58:59], vcc
	s_xor_b64 s[58:59], exec, s[58:59]
; %bb.643:                              ;   in Loop: Header=BB10_534 Depth=2
	v_bfe_u32 v4, v15, 16, 1
	v_add3_u32 v11, v15, v4, s31
                                        ; implicit-def: $vgpr15
; %bb.644:                              ;   in Loop: Header=BB10_534 Depth=2
	s_andn2_saveexec_b64 s[58:59], s[58:59]
; %bb.645:                              ;   in Loop: Header=BB10_534 Depth=2
	v_or_b32_e32 v4, 0x10000, v15
	v_cmp_eq_u32_sdwa vcc, v15, v3 src0_sel:WORD_0 src1_sel:DWORD
	v_cndmask_b32_e32 v11, v4, v15, vcc
; %bb.646:                              ;   in Loop: Header=BB10_534 Depth=2
	s_or_b64 exec, exec, s[58:59]
	v_lshlrev_b32_e32 v4, 16, v12
	v_lshlrev_b32_e32 v5, 16, v16
	v_add_f32_e32 v51, v4, v5
	v_and_b32_e32 v4, 0x7f800000, v51
	v_cmp_ne_u32_e32 vcc, s95, v4
                                        ; implicit-def: $vgpr15
	s_and_saveexec_b64 s[58:59], vcc
	s_xor_b64 s[58:59], exec, s[58:59]
; %bb.647:                              ;   in Loop: Header=BB10_534 Depth=2
	v_bfe_u32 v4, v51, 16, 1
	v_add3_u32 v15, v51, v4, s31
                                        ; implicit-def: $vgpr51
; %bb.648:                              ;   in Loop: Header=BB10_534 Depth=2
	s_andn2_saveexec_b64 s[58:59], s[58:59]
; %bb.649:                              ;   in Loop: Header=BB10_534 Depth=2
	v_or_b32_e32 v4, 0x10000, v51
	v_cmp_eq_u32_sdwa vcc, v51, v3 src0_sel:WORD_0 src1_sel:DWORD
	v_cndmask_b32_e32 v15, v4, v51, vcc
; %bb.650:                              ;   in Loop: Header=BB10_534 Depth=2
	s_or_b64 exec, exec, s[58:59]
	v_and_b32_e32 v4, 0xffff0000, v12
	v_and_b32_e32 v5, 0xffff0000, v16
	v_add_f32_e32 v16, v4, v5
	v_and_b32_e32 v4, 0x7f800000, v16
	v_cmp_ne_u32_e32 vcc, s95, v4
                                        ; implicit-def: $vgpr12
	s_and_saveexec_b64 s[58:59], vcc
	s_xor_b64 s[58:59], exec, s[58:59]
; %bb.651:                              ;   in Loop: Header=BB10_534 Depth=2
	v_bfe_u32 v4, v16, 16, 1
	v_add3_u32 v12, v16, v4, s31
                                        ; implicit-def: $vgpr16
; %bb.652:                              ;   in Loop: Header=BB10_534 Depth=2
	s_andn2_saveexec_b64 s[58:59], s[58:59]
; %bb.653:                              ;   in Loop: Header=BB10_534 Depth=2
	v_or_b32_e32 v4, 0x10000, v16
	v_cmp_eq_u32_sdwa vcc, v16, v3 src0_sel:WORD_0 src1_sel:DWORD
	v_cndmask_b32_e32 v12, v4, v16, vcc
; %bb.654:                              ;   in Loop: Header=BB10_534 Depth=2
	s_or_b64 exec, exec, s[58:59]
	v_lshlrev_b32_e32 v4, 16, v13
	v_lshlrev_b32_e32 v5, 16, v17
	v_add_f32_e32 v51, v4, v5
	v_and_b32_e32 v4, 0x7f800000, v51
	v_cmp_ne_u32_e32 vcc, s95, v4
                                        ; implicit-def: $vgpr16
	s_and_saveexec_b64 s[58:59], vcc
	s_xor_b64 s[58:59], exec, s[58:59]
; %bb.655:                              ;   in Loop: Header=BB10_534 Depth=2
	v_bfe_u32 v4, v51, 16, 1
	v_add3_u32 v16, v51, v4, s31
                                        ; implicit-def: $vgpr51
; %bb.656:                              ;   in Loop: Header=BB10_534 Depth=2
	s_andn2_saveexec_b64 s[58:59], s[58:59]
; %bb.657:                              ;   in Loop: Header=BB10_534 Depth=2
	v_or_b32_e32 v4, 0x10000, v51
	v_cmp_eq_u32_sdwa vcc, v51, v3 src0_sel:WORD_0 src1_sel:DWORD
	v_cndmask_b32_e32 v16, v4, v51, vcc
; %bb.658:                              ;   in Loop: Header=BB10_534 Depth=2
	s_or_b64 exec, exec, s[58:59]
	v_and_b32_e32 v4, 0xffff0000, v13
	v_and_b32_e32 v5, 0xffff0000, v17
	v_add_f32_e32 v17, v4, v5
	v_and_b32_e32 v4, 0x7f800000, v17
	v_cmp_ne_u32_e32 vcc, s95, v4
                                        ; implicit-def: $vgpr13
	s_and_saveexec_b64 s[58:59], vcc
	s_xor_b64 s[58:59], exec, s[58:59]
; %bb.659:                              ;   in Loop: Header=BB10_534 Depth=2
	v_bfe_u32 v4, v17, 16, 1
	v_add3_u32 v13, v17, v4, s31
                                        ; implicit-def: $vgpr17
; %bb.660:                              ;   in Loop: Header=BB10_534 Depth=2
	s_andn2_saveexec_b64 s[58:59], s[58:59]
	s_cbranch_execz .LBB10_533
; %bb.661:                              ;   in Loop: Header=BB10_534 Depth=2
	v_or_b32_e32 v4, 0x10000, v17
	v_cmp_eq_u32_sdwa vcc, v17, v3 src0_sel:WORD_0 src1_sel:DWORD
	v_cndmask_b32_e32 v13, v4, v17, vcc
	s_branch .LBB10_533
.LBB10_662:                             ;   in Loop: Header=BB10_459 Depth=1
	s_or_b64 exec, exec, s[56:57]
	buffer_load_dword v29, off, s[0:3], s33 offset:164 ; 4-byte Folded Reload
	buffer_load_dword v8, off, s[0:3], s33 offset:172 ; 4-byte Folded Reload
	;; [unrolled: 1-line block ×6, first 2 shown]
.LBB10_663:                             ;   in Loop: Header=BB10_459 Depth=1
	s_or_b64 exec, exec, s[18:19]
	s_waitcnt vmcnt(0)
	v_lshlrev_b32_e32 v22, 12, v0
	v_cmp_ne_u32_e32 vcc, v5, v22
	s_mov_b64 s[58:59], 0
	v_mov_b32_e32 v14, 0
                                        ; implicit-def: $vgpr15
                                        ; implicit-def: $vgpr0
	s_and_saveexec_b64 s[56:57], vcc
	s_cbranch_execz .LBB10_703
; %bb.664:                              ;   in Loop: Header=BB10_459 Depth=1
	v_lshlrev_b32_e32 v0, 6, v2
	buffer_load_dword v2, off, s[0:3], s33 offset:192 ; 4-byte Folded Reload
	v_sub_u32_e32 v1, v5, v22
	v_mov_b32_e32 v9, v5
	v_ashrrev_i32_e32 v5, 31, v1
	v_lshrrev_b32_e32 v5, 22, v5
	v_add_u32_e32 v5, v1, v5
	v_and_b32_e32 v23, 0xfffffc00, v5
	v_sub_u32_e32 v25, v1, v23
	v_ashrrev_i32_e32 v6, 10, v5
	v_cmp_lt_i32_e32 vcc, 15, v25
	s_waitcnt vmcnt(0)
	v_sub_u32_e32 v0, v2, v0
	v_ashrrev_i32_e32 v2, 31, v0
	v_lshrrev_b32_e32 v2, 26, v2
	v_add_u32_e32 v2, v0, v2
	v_ashrrev_i32_e32 v4, 6, v2
	v_and_b32_e32 v2, 0xffffffc0, v2
	v_sub_u32_e32 v2, v0, v2
	v_lshlrev_b32_e32 v0, 4, v2
	v_lshl_add_u32 v0, v4, 10, v0
	v_sub_u32_e32 v26, v1, v0
	v_addc_co_u32_e64 v1, s[18:19], 0, v6, vcc
	v_sub_u32_e32 v24, v1, v4
	v_cmp_lt_i32_e64 s[18:19], 15, v26
	s_and_saveexec_b64 s[58:59], s[18:19]
	s_cbranch_execz .LBB10_700
; %bb.665:                              ;   in Loop: Header=BB10_459 Depth=1
	s_trap 2
	ds_read_b64 v[4:5], v0
	v_add_u32_e32 v6, v0, v22
	v_mov_b32_e32 v0, v32
	v_ashrrev_i32_e32 v7, 31, v6
	v_mov_b32_e32 v1, v33
	v_add_co_u32_e64 v0, s[18:19], v6, v0
	v_addc_co_u32_e64 v1, s[18:19], v7, v1, s[18:19]
	s_waitcnt lgkmcnt(0)
	v_add_co_u32_e64 v18, s[18:19], v4, v6
	v_addc_co_u32_e64 v19, s[18:19], v5, v7, s[18:19]
	buffer_load_dword v4, off, s[0:3], s33 offset:128 ; 4-byte Folded Reload
	buffer_load_dword v5, off, s[0:3], s33 offset:132 ; 4-byte Folded Reload
	s_mov_b64 s[60:61], 0
	s_waitcnt vmcnt(1)
	v_add_co_u32_e64 v20, s[18:19], v6, v4
	s_waitcnt vmcnt(0)
	v_addc_co_u32_e64 v21, s[18:19], v7, v5, s[18:19]
	s_branch .LBB10_667
.LBB10_666:                             ;   in Loop: Header=BB10_667 Depth=2
	s_or_b64 exec, exec, s[62:63]
	v_lshrrev_b32_e32 v4, 16, v14
	v_and_or_b32 v5, v11, s34, v4
	v_lshrrev_b32_e32 v4, 16, v27
	v_lshrrev_b32_e32 v6, 16, v15
	;; [unrolled: 1-line block ×3, first 2 shown]
	v_and_or_b32 v4, v10, s34, v4
	v_and_or_b32 v6, v12, s34, v6
	v_and_or_b32 v7, v13, s34, v7
	global_store_dwordx4 v[20:21], v[4:7], off glc slc
	buffer_load_dword v4, off, s[0:3], s33 offset:108 ; 4-byte Folded Reload
	v_sub_u32_e32 v24, v24, v57
	s_waitcnt vmcnt(0)
	v_add_co_u32_e64 v0, s[18:19], v0, v4
	v_addc_co_u32_e64 v1, s[18:19], 0, v1, s[18:19]
	v_add_co_u32_e64 v18, s[18:19], v18, v4
	v_addc_co_u32_e64 v19, s[18:19], 0, v19, s[18:19]
	;; [unrolled: 2-line block ×3, first 2 shown]
	v_sub_u32_e32 v26, v26, v4
	v_cmp_gt_i32_e64 s[18:19], 16, v26
	s_or_b64 s[60:61], s[18:19], s[60:61]
	s_andn2_b64 exec, exec, s[60:61]
	s_cbranch_execz .LBB10_699
.LBB10_667:                             ;   Parent Loop BB10_459 Depth=1
                                        ; =>  This Inner Loop Header: Depth=2
	global_load_dwordx4 v[10:13], v[18:19], off glc slc
	global_load_dwordx4 v[14:17], v[0:1], off glc slc
                                        ; implicit-def: $vgpr27
	s_waitcnt vmcnt(1)
	v_lshlrev_b32_e32 v4, 16, v10
	s_waitcnt vmcnt(0)
	v_lshlrev_b32_e32 v5, 16, v14
	v_add_f32_e32 v28, v5, v4
	v_and_b32_e32 v4, 0x7f800000, v28
	v_cmp_ne_u32_e64 s[18:19], s95, v4
	s_and_saveexec_b64 s[62:63], s[18:19]
	s_xor_b64 s[18:19], exec, s[62:63]
; %bb.668:                              ;   in Loop: Header=BB10_667 Depth=2
	v_bfe_u32 v4, v28, 16, 1
	v_add3_u32 v27, v28, v4, s31
                                        ; implicit-def: $vgpr28
; %bb.669:                              ;   in Loop: Header=BB10_667 Depth=2
	s_andn2_saveexec_b64 s[62:63], s[18:19]
; %bb.670:                              ;   in Loop: Header=BB10_667 Depth=2
	v_or_b32_e32 v4, 0x10000, v28
	v_cmp_eq_u32_sdwa s[18:19], v28, v3 src0_sel:WORD_0 src1_sel:DWORD
	v_cndmask_b32_e64 v27, v4, v28, s[18:19]
; %bb.671:                              ;   in Loop: Header=BB10_667 Depth=2
	s_or_b64 exec, exec, s[62:63]
	v_and_b32_e32 v4, 0xffff0000, v10
	v_and_b32_e32 v5, 0xffff0000, v14
	v_add_f32_e32 v14, v5, v4
	v_and_b32_e32 v4, 0x7f800000, v14
	v_cmp_ne_u32_e64 s[18:19], s95, v4
                                        ; implicit-def: $vgpr10
	s_and_saveexec_b64 s[62:63], s[18:19]
	s_xor_b64 s[18:19], exec, s[62:63]
; %bb.672:                              ;   in Loop: Header=BB10_667 Depth=2
	v_bfe_u32 v4, v14, 16, 1
	v_add3_u32 v10, v14, v4, s31
                                        ; implicit-def: $vgpr14
; %bb.673:                              ;   in Loop: Header=BB10_667 Depth=2
	s_andn2_saveexec_b64 s[62:63], s[18:19]
; %bb.674:                              ;   in Loop: Header=BB10_667 Depth=2
	v_or_b32_e32 v4, 0x10000, v14
	v_cmp_eq_u32_sdwa s[18:19], v14, v3 src0_sel:WORD_0 src1_sel:DWORD
	v_cndmask_b32_e64 v10, v4, v14, s[18:19]
; %bb.675:                              ;   in Loop: Header=BB10_667 Depth=2
	s_or_b64 exec, exec, s[62:63]
	v_lshlrev_b32_e32 v4, 16, v11
	v_lshlrev_b32_e32 v5, 16, v15
	v_add_f32_e32 v28, v5, v4
	v_and_b32_e32 v4, 0x7f800000, v28
	v_cmp_ne_u32_e64 s[18:19], s95, v4
                                        ; implicit-def: $vgpr14
	s_and_saveexec_b64 s[62:63], s[18:19]
	s_xor_b64 s[18:19], exec, s[62:63]
; %bb.676:                              ;   in Loop: Header=BB10_667 Depth=2
	v_bfe_u32 v4, v28, 16, 1
	v_add3_u32 v14, v28, v4, s31
                                        ; implicit-def: $vgpr28
; %bb.677:                              ;   in Loop: Header=BB10_667 Depth=2
	s_andn2_saveexec_b64 s[62:63], s[18:19]
; %bb.678:                              ;   in Loop: Header=BB10_667 Depth=2
	v_or_b32_e32 v4, 0x10000, v28
	v_cmp_eq_u32_sdwa s[18:19], v28, v3 src0_sel:WORD_0 src1_sel:DWORD
	v_cndmask_b32_e64 v14, v4, v28, s[18:19]
; %bb.679:                              ;   in Loop: Header=BB10_667 Depth=2
	s_or_b64 exec, exec, s[62:63]
	v_and_b32_e32 v4, 0xffff0000, v15
	v_and_b32_e32 v5, 0xffff0000, v11
	v_add_f32_e32 v15, v4, v5
	v_and_b32_e32 v4, 0x7f800000, v15
	v_cmp_ne_u32_e64 s[18:19], s95, v4
                                        ; implicit-def: $vgpr11
	s_and_saveexec_b64 s[62:63], s[18:19]
	s_xor_b64 s[18:19], exec, s[62:63]
; %bb.680:                              ;   in Loop: Header=BB10_667 Depth=2
	v_bfe_u32 v4, v15, 16, 1
	v_add3_u32 v11, v15, v4, s31
                                        ; implicit-def: $vgpr15
; %bb.681:                              ;   in Loop: Header=BB10_667 Depth=2
	s_andn2_saveexec_b64 s[62:63], s[18:19]
; %bb.682:                              ;   in Loop: Header=BB10_667 Depth=2
	v_or_b32_e32 v4, 0x10000, v15
	v_cmp_eq_u32_sdwa s[18:19], v15, v3 src0_sel:WORD_0 src1_sel:DWORD
	v_cndmask_b32_e64 v11, v4, v15, s[18:19]
; %bb.683:                              ;   in Loop: Header=BB10_667 Depth=2
	s_or_b64 exec, exec, s[62:63]
	v_lshlrev_b32_e32 v4, 16, v12
	v_lshlrev_b32_e32 v5, 16, v16
	v_add_f32_e32 v28, v5, v4
	v_and_b32_e32 v4, 0x7f800000, v28
	v_cmp_ne_u32_e64 s[18:19], s95, v4
                                        ; implicit-def: $vgpr15
	s_and_saveexec_b64 s[62:63], s[18:19]
	s_xor_b64 s[18:19], exec, s[62:63]
; %bb.684:                              ;   in Loop: Header=BB10_667 Depth=2
	v_bfe_u32 v4, v28, 16, 1
	v_add3_u32 v15, v28, v4, s31
                                        ; implicit-def: $vgpr28
; %bb.685:                              ;   in Loop: Header=BB10_667 Depth=2
	s_andn2_saveexec_b64 s[62:63], s[18:19]
; %bb.686:                              ;   in Loop: Header=BB10_667 Depth=2
	v_or_b32_e32 v4, 0x10000, v28
	v_cmp_eq_u32_sdwa s[18:19], v28, v3 src0_sel:WORD_0 src1_sel:DWORD
	v_cndmask_b32_e64 v15, v4, v28, s[18:19]
; %bb.687:                              ;   in Loop: Header=BB10_667 Depth=2
	s_or_b64 exec, exec, s[62:63]
	v_and_b32_e32 v4, 0xffff0000, v16
	v_and_b32_e32 v5, 0xffff0000, v12
	v_add_f32_e32 v16, v4, v5
	v_and_b32_e32 v4, 0x7f800000, v16
	v_cmp_ne_u32_e64 s[18:19], s95, v4
                                        ; implicit-def: $vgpr12
	s_and_saveexec_b64 s[62:63], s[18:19]
	s_xor_b64 s[18:19], exec, s[62:63]
; %bb.688:                              ;   in Loop: Header=BB10_667 Depth=2
	v_bfe_u32 v4, v16, 16, 1
	v_add3_u32 v12, v16, v4, s31
                                        ; implicit-def: $vgpr16
; %bb.689:                              ;   in Loop: Header=BB10_667 Depth=2
	s_andn2_saveexec_b64 s[62:63], s[18:19]
; %bb.690:                              ;   in Loop: Header=BB10_667 Depth=2
	v_or_b32_e32 v4, 0x10000, v16
	v_cmp_eq_u32_sdwa s[18:19], v16, v3 src0_sel:WORD_0 src1_sel:DWORD
	v_cndmask_b32_e64 v12, v4, v16, s[18:19]
; %bb.691:                              ;   in Loop: Header=BB10_667 Depth=2
	s_or_b64 exec, exec, s[62:63]
	v_lshlrev_b32_e32 v4, 16, v13
	v_lshlrev_b32_e32 v5, 16, v17
	v_add_f32_e32 v28, v5, v4
	v_and_b32_e32 v4, 0x7f800000, v28
	v_cmp_ne_u32_e64 s[18:19], s95, v4
                                        ; implicit-def: $vgpr16
	s_and_saveexec_b64 s[62:63], s[18:19]
	s_xor_b64 s[18:19], exec, s[62:63]
; %bb.692:                              ;   in Loop: Header=BB10_667 Depth=2
	v_bfe_u32 v4, v28, 16, 1
	v_add3_u32 v16, v28, v4, s31
                                        ; implicit-def: $vgpr28
; %bb.693:                              ;   in Loop: Header=BB10_667 Depth=2
	s_andn2_saveexec_b64 s[62:63], s[18:19]
; %bb.694:                              ;   in Loop: Header=BB10_667 Depth=2
	v_or_b32_e32 v4, 0x10000, v28
	v_cmp_eq_u32_sdwa s[18:19], v28, v3 src0_sel:WORD_0 src1_sel:DWORD
	v_cndmask_b32_e64 v16, v4, v28, s[18:19]
; %bb.695:                              ;   in Loop: Header=BB10_667 Depth=2
	s_or_b64 exec, exec, s[62:63]
	v_and_b32_e32 v4, 0xffff0000, v17
	v_and_b32_e32 v5, 0xffff0000, v13
	v_add_f32_e32 v17, v4, v5
	v_and_b32_e32 v4, 0x7f800000, v17
	v_cmp_ne_u32_e64 s[18:19], s95, v4
                                        ; implicit-def: $vgpr13
	s_and_saveexec_b64 s[62:63], s[18:19]
	s_xor_b64 s[18:19], exec, s[62:63]
; %bb.696:                              ;   in Loop: Header=BB10_667 Depth=2
	v_bfe_u32 v4, v17, 16, 1
	v_add3_u32 v13, v17, v4, s31
                                        ; implicit-def: $vgpr17
; %bb.697:                              ;   in Loop: Header=BB10_667 Depth=2
	s_andn2_saveexec_b64 s[62:63], s[18:19]
	s_cbranch_execz .LBB10_666
; %bb.698:                              ;   in Loop: Header=BB10_667 Depth=2
	v_or_b32_e32 v4, 0x10000, v17
	v_cmp_eq_u32_sdwa s[18:19], v17, v3 src0_sel:WORD_0 src1_sel:DWORD
	v_cndmask_b32_e64 v13, v4, v17, s[18:19]
	s_branch .LBB10_666
.LBB10_699:                             ;   in Loop: Header=BB10_459 Depth=1
	s_or_b64 exec, exec, s[60:61]
.LBB10_700:                             ;   in Loop: Header=BB10_459 Depth=1
	s_or_b64 exec, exec, s[58:59]
	v_and_b32_e32 v1, 14, v9
	v_cndmask_b32_e32 v5, v25, v1, vcc
	v_mov_b32_e32 v14, 0
	v_cmp_ne_u32_e64 s[18:19], 0, v5
	s_mov_b64 s[58:59], 0
                                        ; implicit-def: $vgpr15
                                        ; implicit-def: $vgpr0
	s_and_saveexec_b64 s[60:61], s[18:19]
	s_cbranch_execz .LBB10_702
; %bb.701:                              ;   in Loop: Header=BB10_459 Depth=1
	v_sub_u32_e32 v0, v25, v1
	v_cndmask_b32_e32 v0, 0, v0, vcc
	v_cmp_lt_i32_e32 vcc, 0, v24
	v_add3_u32 v14, v23, v22, v0
	v_cndmask_b32_e32 v0, 0, v57, vcc
	v_sub_u32_e32 v0, v0, v24
	v_lshl_add_u32 v15, v0, 6, v2
	v_ashrrev_i32_e32 v0, 31, v15
	v_lshrrev_b32_e32 v0, 26, v0
	v_add_u32_e32 v0, v15, v0
	s_mov_b64 s[58:59], exec
	v_ashrrev_i32_e32 v0, 6, v0
.LBB10_702:                             ;   in Loop: Header=BB10_459 Depth=1
	s_or_b64 exec, exec, s[60:61]
	s_and_b64 s[58:59], s[58:59], exec
.LBB10_703:                             ;   in Loop: Header=BB10_459 Depth=1
	s_or_b64 exec, exec, s[56:57]
	s_and_saveexec_b64 s[18:19], s[58:59]
	s_cbranch_execz .LBB10_780
.LBB10_704:                             ;   in Loop: Header=BB10_459 Depth=1
	v_ashrrev_i32_e32 v1, 31, v5
	v_lshrrev_b32_e32 v1, 21, v1
	v_add_u32_e32 v1, v5, v1
	v_ashrrev_i32_e32 v4, 11, v1
	v_sub_u32_e32 v2, v4, v0
	v_ashrrev_i32_e32 v1, 31, v15
	v_cmp_lt_i32_e32 vcc, 0, v2
	v_lshrrev_b32_e32 v1, 26, v1
	s_and_saveexec_b64 s[56:57], vcc
	s_cbranch_execz .LBB10_772
; %bb.705:                              ;   in Loop: Header=BB10_459 Depth=1
	v_mov_b32_e32 v9, v1
	v_add_u32_e32 v1, v15, v1
	v_and_b32_e32 v1, 0x7fffffc0, v1
	v_sub_u32_e32 v1, v15, v1
	v_lshlrev_b32_e32 v1, 1, v1
	v_lshlrev_b32_e32 v0, 11, v0
	v_add3_u32 v6, v1, v14, v0
	buffer_store_dword v4, off, s[0:3], s33 offset:172 ; 4-byte Folded Spill
	buffer_store_dword v5, off, s[0:3], s33 offset:144 ; 4-byte Folded Spill
	s_trap 2
	ds_read_b64 v[4:5], v0
	v_add_co_u32_e32 v0, vcc, v6, v32
	buffer_store_dword v32, off, s[0:3], s33 offset:136 ; 4-byte Folded Spill
	s_nop 0
	buffer_store_dword v33, off, s[0:3], s33 offset:140 ; 4-byte Folded Spill
	v_ashrrev_i32_e32 v7, 31, v6
	s_mov_b64 s[58:59], 0
	v_addc_co_u32_e32 v1, vcc, v7, v33, vcc
	s_waitcnt lgkmcnt(0)
	v_add_co_u32_e32 v10, vcc, v4, v6
	v_addc_co_u32_e32 v11, vcc, v5, v7, vcc
	buffer_load_dword v4, off, s[0:3], s33 offset:128 ; 4-byte Folded Reload
	buffer_load_dword v5, off, s[0:3], s33 offset:132 ; 4-byte Folded Reload
	s_waitcnt vmcnt(1)
	v_add_co_u32_e32 v4, vcc, 0x780, v4
	s_waitcnt vmcnt(0)
	v_addc_co_u32_e32 v5, vcc, 0, v5, vcc
	v_add_co_u32_e32 v12, vcc, v4, v6
	v_addc_co_u32_e32 v13, vcc, v5, v7, vcc
	s_branch .LBB10_707
.LBB10_706:                             ;   in Loop: Header=BB10_707 Depth=2
	s_or_b64 exec, exec, s[60:61]
	v_add_co_u32_e32 v4, vcc, 0xfffff880, v12
	v_addc_co_u32_e32 v5, vcc, -1, v13, vcc
	flat_store_short_d16_hi v[4:5], v19 glc slc
	v_add_co_u32_e32 v4, vcc, 0xfffff900, v12
	v_addc_co_u32_e32 v5, vcc, -1, v13, vcc
	flat_store_short_d16_hi v[4:5], v21 glc slc
	;; [unrolled: 3-line block ×14, first 2 shown]
	v_add_co_u32_e32 v4, vcc, 0xffffff80, v12
	v_addc_co_u32_e32 v5, vcc, -1, v13, vcc
	v_add_co_u32_e32 v0, vcc, v0, v55
	v_addc_co_u32_e32 v1, vcc, 0, v1, vcc
	v_add_co_u32_e32 v10, vcc, v10, v55
	v_addc_co_u32_e32 v11, vcc, 0, v11, vcc
	v_sub_u32_e32 v2, v2, v57
	v_cmp_gt_i32_e32 vcc, 1, v2
	flat_store_short_d16_hi v[4:5], v20 glc slc
	flat_store_short_d16_hi v[12:13], v18 glc slc
	s_or_b64 s[58:59], vcc, s[58:59]
	v_add_co_u32_e32 v12, vcc, v12, v55
	v_addc_co_u32_e32 v13, vcc, 0, v13, vcc
	s_andn2_b64 exec, exec, s[58:59]
	s_cbranch_execz .LBB10_771
.LBB10_707:                             ;   Parent Loop BB10_459 Depth=1
                                        ; =>  This Inner Loop Header: Depth=2
	flat_load_ushort v39, v[0:1] offset:1024 glc slc
	flat_load_ushort v37, v[0:1] offset:1152 glc slc
	;; [unrolled: 1-line block ×15, first 2 shown]
	flat_load_ushort v4, v[0:1] glc slc
	flat_load_ushort v16, v[10:11] offset:128 glc slc
	flat_load_ushort v62, v[10:11] offset:256 glc slc
	;; [unrolled: 1-line block ×7, first 2 shown]
	flat_load_ushort v5, v[10:11] glc slc
	flat_load_ushort v49, v[10:11] offset:1024 glc slc
	flat_load_ushort v48, v[10:11] offset:1152 glc slc
	;; [unrolled: 1-line block ×8, first 2 shown]
                                        ; implicit-def: $vgpr19
	s_waitcnt vmcnt(0) lgkmcnt(0)
	v_lshlrev_b32_e32 v4, 16, v4
	v_lshlrev_b32_e32 v5, 16, v5
	v_add_f32_e32 v17, v4, v5
	v_and_b32_e32 v4, 0x7f800000, v17
	v_cmp_ne_u32_e32 vcc, s95, v4
	s_and_saveexec_b64 s[60:61], vcc
	s_xor_b64 s[60:61], exec, s[60:61]
; %bb.708:                              ;   in Loop: Header=BB10_707 Depth=2
	v_bfe_u32 v4, v17, 16, 1
	v_add3_u32 v19, v17, v4, s31
                                        ; implicit-def: $vgpr17
; %bb.709:                              ;   in Loop: Header=BB10_707 Depth=2
	s_andn2_saveexec_b64 s[60:61], s[60:61]
; %bb.710:                              ;   in Loop: Header=BB10_707 Depth=2
	v_or_b32_e32 v4, 0x10000, v17
	v_cmp_eq_u32_sdwa vcc, v17, v3 src0_sel:WORD_0 src1_sel:DWORD
	v_cndmask_b32_e32 v19, v4, v17, vcc
; %bb.711:                              ;   in Loop: Header=BB10_707 Depth=2
	s_or_b64 exec, exec, s[60:61]
	v_lshlrev_b32_e32 v4, 16, v21
	v_lshlrev_b32_e32 v5, 16, v16
	v_add_f32_e32 v16, v4, v5
	v_and_b32_e32 v4, 0x7f800000, v16
	v_cmp_ne_u32_e32 vcc, s95, v4
                                        ; implicit-def: $vgpr21
	s_and_saveexec_b64 s[60:61], vcc
	s_xor_b64 s[60:61], exec, s[60:61]
; %bb.712:                              ;   in Loop: Header=BB10_707 Depth=2
	v_bfe_u32 v4, v16, 16, 1
	v_add3_u32 v21, v16, v4, s31
                                        ; implicit-def: $vgpr16
; %bb.713:                              ;   in Loop: Header=BB10_707 Depth=2
	s_andn2_saveexec_b64 s[60:61], s[60:61]
; %bb.714:                              ;   in Loop: Header=BB10_707 Depth=2
	v_or_b32_e32 v4, 0x10000, v16
	v_cmp_eq_u32_sdwa vcc, v16, v3 src0_sel:WORD_0 src1_sel:DWORD
	v_cndmask_b32_e32 v21, v4, v16, vcc
; %bb.715:                              ;   in Loop: Header=BB10_707 Depth=2
	s_or_b64 exec, exec, s[60:61]
	v_lshlrev_b32_e32 v4, 16, v23
	v_lshlrev_b32_e32 v5, 16, v62
	v_add_f32_e32 v16, v4, v5
	v_and_b32_e32 v4, 0x7f800000, v16
	v_cmp_ne_u32_e32 vcc, s95, v4
                                        ; implicit-def: $vgpr23
	s_and_saveexec_b64 s[60:61], vcc
	s_xor_b64 s[60:61], exec, s[60:61]
; %bb.716:                              ;   in Loop: Header=BB10_707 Depth=2
	v_bfe_u32 v4, v16, 16, 1
	v_add3_u32 v23, v16, v4, s31
                                        ; implicit-def: $vgpr16
; %bb.717:                              ;   in Loop: Header=BB10_707 Depth=2
	s_andn2_saveexec_b64 s[60:61], s[60:61]
; %bb.718:                              ;   in Loop: Header=BB10_707 Depth=2
	v_or_b32_e32 v4, 0x10000, v16
	v_cmp_eq_u32_sdwa vcc, v16, v3 src0_sel:WORD_0 src1_sel:DWORD
	v_cndmask_b32_e32 v23, v4, v16, vcc
; %bb.719:                              ;   in Loop: Header=BB10_707 Depth=2
	s_or_b64 exec, exec, s[60:61]
	v_lshlrev_b32_e32 v4, 16, v26
	v_lshlrev_b32_e32 v5, 16, v61
	v_add_f32_e32 v16, v4, v5
	v_and_b32_e32 v4, 0x7f800000, v16
	v_cmp_ne_u32_e32 vcc, s95, v4
                                        ; implicit-def: $vgpr26
	s_and_saveexec_b64 s[60:61], vcc
	s_xor_b64 s[60:61], exec, s[60:61]
; %bb.720:                              ;   in Loop: Header=BB10_707 Depth=2
	v_bfe_u32 v4, v16, 16, 1
	v_add3_u32 v26, v16, v4, s31
                                        ; implicit-def: $vgpr16
; %bb.721:                              ;   in Loop: Header=BB10_707 Depth=2
	s_andn2_saveexec_b64 s[60:61], s[60:61]
; %bb.722:                              ;   in Loop: Header=BB10_707 Depth=2
	v_or_b32_e32 v4, 0x10000, v16
	v_cmp_eq_u32_sdwa vcc, v16, v3 src0_sel:WORD_0 src1_sel:DWORD
	v_cndmask_b32_e32 v26, v4, v16, vcc
; %bb.723:                              ;   in Loop: Header=BB10_707 Depth=2
	s_or_b64 exec, exec, s[60:61]
	v_lshlrev_b32_e32 v4, 16, v29
	v_lshlrev_b32_e32 v5, 16, v53
	v_add_f32_e32 v16, v4, v5
	v_and_b32_e32 v4, 0x7f800000, v16
	v_cmp_ne_u32_e32 vcc, s95, v4
                                        ; implicit-def: $vgpr29
	s_and_saveexec_b64 s[60:61], vcc
	s_xor_b64 s[60:61], exec, s[60:61]
; %bb.724:                              ;   in Loop: Header=BB10_707 Depth=2
	v_bfe_u32 v4, v16, 16, 1
	v_add3_u32 v29, v16, v4, s31
                                        ; implicit-def: $vgpr16
; %bb.725:                              ;   in Loop: Header=BB10_707 Depth=2
	s_andn2_saveexec_b64 s[60:61], s[60:61]
; %bb.726:                              ;   in Loop: Header=BB10_707 Depth=2
	v_or_b32_e32 v4, 0x10000, v16
	v_cmp_eq_u32_sdwa vcc, v16, v3 src0_sel:WORD_0 src1_sel:DWORD
	v_cndmask_b32_e32 v29, v4, v16, vcc
; %bb.727:                              ;   in Loop: Header=BB10_707 Depth=2
	s_or_b64 exec, exec, s[60:61]
	v_lshlrev_b32_e32 v4, 16, v32
	v_lshlrev_b32_e32 v5, 16, v52
	v_add_f32_e32 v16, v4, v5
	v_and_b32_e32 v4, 0x7f800000, v16
	v_cmp_ne_u32_e32 vcc, s95, v4
                                        ; implicit-def: $vgpr32
	s_and_saveexec_b64 s[60:61], vcc
	s_xor_b64 s[60:61], exec, s[60:61]
; %bb.728:                              ;   in Loop: Header=BB10_707 Depth=2
	v_bfe_u32 v4, v16, 16, 1
	v_add3_u32 v32, v16, v4, s31
                                        ; implicit-def: $vgpr16
; %bb.729:                              ;   in Loop: Header=BB10_707 Depth=2
	s_andn2_saveexec_b64 s[60:61], s[60:61]
; %bb.730:                              ;   in Loop: Header=BB10_707 Depth=2
	v_or_b32_e32 v4, 0x10000, v16
	v_cmp_eq_u32_sdwa vcc, v16, v3 src0_sel:WORD_0 src1_sel:DWORD
	v_cndmask_b32_e32 v32, v4, v16, vcc
; %bb.731:                              ;   in Loop: Header=BB10_707 Depth=2
	s_or_b64 exec, exec, s[60:61]
	v_lshlrev_b32_e32 v4, 16, v33
	v_lshlrev_b32_e32 v5, 16, v51
	v_add_f32_e32 v16, v4, v5
	v_and_b32_e32 v4, 0x7f800000, v16
	v_cmp_ne_u32_e32 vcc, s95, v4
                                        ; implicit-def: $vgpr33
	s_and_saveexec_b64 s[60:61], vcc
	s_xor_b64 s[60:61], exec, s[60:61]
; %bb.732:                              ;   in Loop: Header=BB10_707 Depth=2
	v_bfe_u32 v4, v16, 16, 1
	v_add3_u32 v33, v16, v4, s31
                                        ; implicit-def: $vgpr16
; %bb.733:                              ;   in Loop: Header=BB10_707 Depth=2
	s_andn2_saveexec_b64 s[60:61], s[60:61]
; %bb.734:                              ;   in Loop: Header=BB10_707 Depth=2
	v_or_b32_e32 v4, 0x10000, v16
	v_cmp_eq_u32_sdwa vcc, v16, v3 src0_sel:WORD_0 src1_sel:DWORD
	v_cndmask_b32_e32 v33, v4, v16, vcc
; %bb.735:                              ;   in Loop: Header=BB10_707 Depth=2
	s_or_b64 exec, exec, s[60:61]
	v_lshlrev_b32_e32 v4, 16, v36
	v_lshlrev_b32_e32 v5, 16, v50
	v_add_f32_e32 v16, v4, v5
	v_and_b32_e32 v4, 0x7f800000, v16
	v_cmp_ne_u32_e32 vcc, s95, v4
                                        ; implicit-def: $vgpr36
	s_and_saveexec_b64 s[60:61], vcc
	s_xor_b64 s[60:61], exec, s[60:61]
; %bb.736:                              ;   in Loop: Header=BB10_707 Depth=2
	v_bfe_u32 v4, v16, 16, 1
	v_add3_u32 v36, v16, v4, s31
                                        ; implicit-def: $vgpr16
; %bb.737:                              ;   in Loop: Header=BB10_707 Depth=2
	s_andn2_saveexec_b64 s[60:61], s[60:61]
; %bb.738:                              ;   in Loop: Header=BB10_707 Depth=2
	v_or_b32_e32 v4, 0x10000, v16
	v_cmp_eq_u32_sdwa vcc, v16, v3 src0_sel:WORD_0 src1_sel:DWORD
	v_cndmask_b32_e32 v36, v4, v16, vcc
; %bb.739:                              ;   in Loop: Header=BB10_707 Depth=2
	s_or_b64 exec, exec, s[60:61]
	v_lshlrev_b32_e32 v4, 16, v39
	v_lshlrev_b32_e32 v5, 16, v49
	v_add_f32_e32 v16, v4, v5
	v_and_b32_e32 v4, 0x7f800000, v16
	v_cmp_ne_u32_e32 vcc, s95, v4
                                        ; implicit-def: $vgpr39
	s_and_saveexec_b64 s[60:61], vcc
	s_xor_b64 s[60:61], exec, s[60:61]
; %bb.740:                              ;   in Loop: Header=BB10_707 Depth=2
	v_bfe_u32 v4, v16, 16, 1
	v_add3_u32 v39, v16, v4, s31
                                        ; implicit-def: $vgpr16
; %bb.741:                              ;   in Loop: Header=BB10_707 Depth=2
	s_andn2_saveexec_b64 s[60:61], s[60:61]
; %bb.742:                              ;   in Loop: Header=BB10_707 Depth=2
	v_or_b32_e32 v4, 0x10000, v16
	v_cmp_eq_u32_sdwa vcc, v16, v3 src0_sel:WORD_0 src1_sel:DWORD
	v_cndmask_b32_e32 v39, v4, v16, vcc
; %bb.743:                              ;   in Loop: Header=BB10_707 Depth=2
	s_or_b64 exec, exec, s[60:61]
	v_lshlrev_b32_e32 v4, 16, v37
	v_lshlrev_b32_e32 v5, 16, v48
	v_add_f32_e32 v16, v4, v5
	v_and_b32_e32 v4, 0x7f800000, v16
	v_cmp_ne_u32_e32 vcc, s95, v4
                                        ; implicit-def: $vgpr37
	s_and_saveexec_b64 s[60:61], vcc
	s_xor_b64 s[60:61], exec, s[60:61]
; %bb.744:                              ;   in Loop: Header=BB10_707 Depth=2
	v_bfe_u32 v4, v16, 16, 1
	v_add3_u32 v37, v16, v4, s31
                                        ; implicit-def: $vgpr16
; %bb.745:                              ;   in Loop: Header=BB10_707 Depth=2
	s_andn2_saveexec_b64 s[60:61], s[60:61]
; %bb.746:                              ;   in Loop: Header=BB10_707 Depth=2
	v_or_b32_e32 v4, 0x10000, v16
	v_cmp_eq_u32_sdwa vcc, v16, v3 src0_sel:WORD_0 src1_sel:DWORD
	v_cndmask_b32_e32 v37, v4, v16, vcc
; %bb.747:                              ;   in Loop: Header=BB10_707 Depth=2
	s_or_b64 exec, exec, s[60:61]
	v_lshlrev_b32_e32 v4, 16, v34
	v_lshlrev_b32_e32 v5, 16, v38
	v_add_f32_e32 v16, v4, v5
	v_and_b32_e32 v4, 0x7f800000, v16
	v_cmp_ne_u32_e32 vcc, s95, v4
                                        ; implicit-def: $vgpr34
	s_and_saveexec_b64 s[60:61], vcc
	s_xor_b64 s[60:61], exec, s[60:61]
; %bb.748:                              ;   in Loop: Header=BB10_707 Depth=2
	v_bfe_u32 v4, v16, 16, 1
	v_add3_u32 v34, v16, v4, s31
                                        ; implicit-def: $vgpr16
; %bb.749:                              ;   in Loop: Header=BB10_707 Depth=2
	s_andn2_saveexec_b64 s[60:61], s[60:61]
; %bb.750:                              ;   in Loop: Header=BB10_707 Depth=2
	v_or_b32_e32 v4, 0x10000, v16
	v_cmp_eq_u32_sdwa vcc, v16, v3 src0_sel:WORD_0 src1_sel:DWORD
	v_cndmask_b32_e32 v34, v4, v16, vcc
; %bb.751:                              ;   in Loop: Header=BB10_707 Depth=2
	s_or_b64 exec, exec, s[60:61]
	v_lshlrev_b32_e32 v4, 16, v30
	v_lshlrev_b32_e32 v5, 16, v35
	v_add_f32_e32 v16, v4, v5
	v_and_b32_e32 v4, 0x7f800000, v16
	v_cmp_ne_u32_e32 vcc, s95, v4
                                        ; implicit-def: $vgpr30
	s_and_saveexec_b64 s[60:61], vcc
	s_xor_b64 s[60:61], exec, s[60:61]
; %bb.752:                              ;   in Loop: Header=BB10_707 Depth=2
	v_bfe_u32 v4, v16, 16, 1
	v_add3_u32 v30, v16, v4, s31
                                        ; implicit-def: $vgpr16
; %bb.753:                              ;   in Loop: Header=BB10_707 Depth=2
	s_andn2_saveexec_b64 s[60:61], s[60:61]
; %bb.754:                              ;   in Loop: Header=BB10_707 Depth=2
	v_or_b32_e32 v4, 0x10000, v16
	v_cmp_eq_u32_sdwa vcc, v16, v3 src0_sel:WORD_0 src1_sel:DWORD
	v_cndmask_b32_e32 v30, v4, v16, vcc
; %bb.755:                              ;   in Loop: Header=BB10_707 Depth=2
	s_or_b64 exec, exec, s[60:61]
	v_lshlrev_b32_e32 v4, 16, v27
	v_lshlrev_b32_e32 v5, 16, v6
	v_add_f32_e32 v16, v4, v5
	v_and_b32_e32 v4, 0x7f800000, v16
	v_cmp_ne_u32_e32 vcc, s95, v4
                                        ; implicit-def: $vgpr27
	s_and_saveexec_b64 s[60:61], vcc
	s_xor_b64 s[60:61], exec, s[60:61]
; %bb.756:                              ;   in Loop: Header=BB10_707 Depth=2
	v_bfe_u32 v4, v16, 16, 1
	v_add3_u32 v27, v16, v4, s31
                                        ; implicit-def: $vgpr16
; %bb.757:                              ;   in Loop: Header=BB10_707 Depth=2
	s_andn2_saveexec_b64 s[60:61], s[60:61]
; %bb.758:                              ;   in Loop: Header=BB10_707 Depth=2
	v_or_b32_e32 v4, 0x10000, v16
	v_cmp_eq_u32_sdwa vcc, v16, v3 src0_sel:WORD_0 src1_sel:DWORD
	v_cndmask_b32_e32 v27, v4, v16, vcc
; %bb.759:                              ;   in Loop: Header=BB10_707 Depth=2
	s_or_b64 exec, exec, s[60:61]
	v_lshlrev_b32_e32 v4, 16, v24
	v_lshlrev_b32_e32 v5, 16, v28
	v_add_f32_e32 v16, v4, v5
	v_and_b32_e32 v4, 0x7f800000, v16
	v_cmp_ne_u32_e32 vcc, s95, v4
                                        ; implicit-def: $vgpr24
	s_and_saveexec_b64 s[60:61], vcc
	s_xor_b64 s[60:61], exec, s[60:61]
; %bb.760:                              ;   in Loop: Header=BB10_707 Depth=2
	v_bfe_u32 v4, v16, 16, 1
	v_add3_u32 v24, v16, v4, s31
                                        ; implicit-def: $vgpr16
; %bb.761:                              ;   in Loop: Header=BB10_707 Depth=2
	s_andn2_saveexec_b64 s[60:61], s[60:61]
; %bb.762:                              ;   in Loop: Header=BB10_707 Depth=2
	v_or_b32_e32 v4, 0x10000, v16
	v_cmp_eq_u32_sdwa vcc, v16, v3 src0_sel:WORD_0 src1_sel:DWORD
	v_cndmask_b32_e32 v24, v4, v16, vcc
; %bb.763:                              ;   in Loop: Header=BB10_707 Depth=2
	s_or_b64 exec, exec, s[60:61]
	v_lshlrev_b32_e32 v4, 16, v20
	v_lshlrev_b32_e32 v5, 16, v25
	v_add_f32_e32 v16, v4, v5
	v_and_b32_e32 v4, 0x7f800000, v16
	v_cmp_ne_u32_e32 vcc, s95, v4
                                        ; implicit-def: $vgpr20
	s_and_saveexec_b64 s[60:61], vcc
	s_xor_b64 s[60:61], exec, s[60:61]
; %bb.764:                              ;   in Loop: Header=BB10_707 Depth=2
	v_bfe_u32 v4, v16, 16, 1
	v_add3_u32 v20, v16, v4, s31
                                        ; implicit-def: $vgpr16
; %bb.765:                              ;   in Loop: Header=BB10_707 Depth=2
	s_andn2_saveexec_b64 s[60:61], s[60:61]
; %bb.766:                              ;   in Loop: Header=BB10_707 Depth=2
	v_or_b32_e32 v4, 0x10000, v16
	v_cmp_eq_u32_sdwa vcc, v16, v3 src0_sel:WORD_0 src1_sel:DWORD
	v_cndmask_b32_e32 v20, v4, v16, vcc
; %bb.767:                              ;   in Loop: Header=BB10_707 Depth=2
	s_or_b64 exec, exec, s[60:61]
	v_lshlrev_b32_e32 v4, 16, v18
	v_lshlrev_b32_e32 v5, 16, v22
	v_add_f32_e32 v16, v4, v5
	v_and_b32_e32 v4, 0x7f800000, v16
	v_cmp_ne_u32_e32 vcc, s95, v4
                                        ; implicit-def: $vgpr18
	s_and_saveexec_b64 s[60:61], vcc
	s_xor_b64 s[60:61], exec, s[60:61]
; %bb.768:                              ;   in Loop: Header=BB10_707 Depth=2
	v_bfe_u32 v4, v16, 16, 1
	v_add3_u32 v18, v16, v4, s31
                                        ; implicit-def: $vgpr16
; %bb.769:                              ;   in Loop: Header=BB10_707 Depth=2
	s_andn2_saveexec_b64 s[60:61], s[60:61]
	s_cbranch_execz .LBB10_706
; %bb.770:                              ;   in Loop: Header=BB10_707 Depth=2
	v_or_b32_e32 v4, 0x10000, v16
	v_cmp_eq_u32_sdwa vcc, v16, v3 src0_sel:WORD_0 src1_sel:DWORD
	v_cndmask_b32_e32 v18, v4, v16, vcc
	s_branch .LBB10_706
.LBB10_771:                             ;   in Loop: Header=BB10_459 Depth=1
	s_or_b64 exec, exec, s[58:59]
	buffer_load_dword v29, off, s[0:3], s33 offset:164 ; 4-byte Folded Reload
	buffer_load_dword v32, off, s[0:3], s33 offset:136 ; 4-byte Folded Reload
	buffer_load_dword v33, off, s[0:3], s33 offset:140 ; 4-byte Folded Reload
	buffer_load_dword v5, off, s[0:3], s33 offset:144 ; 4-byte Folded Reload
	buffer_load_dword v4, off, s[0:3], s33 offset:172 ; 4-byte Folded Reload
	v_mov_b32_e32 v1, v9
.LBB10_772:                             ;   in Loop: Header=BB10_459 Depth=1
	s_or_b64 exec, exec, s[56:57]
	s_waitcnt vmcnt(0)
	v_lshlrev_b32_e32 v0, 11, v4
	v_cmp_ne_u32_e32 vcc, v5, v0
	s_and_b64 exec, exec, vcc
	s_cbranch_execz .LBB10_780
; %bb.773:                              ;   in Loop: Header=BB10_459 Depth=1
	v_add_u32_e32 v1, v15, v1
	v_and_b32_e32 v1, 0xffffffc0, v1
	v_sub_u32_e32 v1, v15, v1
	v_lshlrev_b32_e32 v2, 6, v2
	v_sub_u32_e32 v1, v1, v2
	v_ashrrev_i32_e32 v2, 31, v1
	v_lshrrev_b32_e32 v2, 26, v2
	v_add_u32_e32 v2, v1, v2
	v_and_b32_e32 v4, 0x7fffffc0, v2
	v_sub_u32_e32 v1, v1, v4
	v_lshlrev_b32_e32 v2, 1, v2
	v_and_b32_e32 v2, 0xffffff80, v2
	v_lshlrev_b32_e32 v1, 1, v1
	v_add3_u32 v0, v2, v1, v0
	v_sub_u32_e32 v2, v5, v0
	v_cmp_lt_i32_e32 vcc, 1, v2
	s_and_b64 exec, exec, vcc
	s_cbranch_execz .LBB10_780
; %bb.774:                              ;   in Loop: Header=BB10_459 Depth=1
	s_trap 2
	ds_read_b64 v[4:5], v0
	v_add_u32_e32 v6, v0, v14
	v_ashrrev_i32_e32 v7, 31, v6
	v_add_co_u32_e32 v0, vcc, v6, v32
	v_addc_co_u32_e32 v1, vcc, v7, v33, vcc
	s_waitcnt lgkmcnt(0)
	v_add_co_u32_e32 v10, vcc, v4, v6
	v_addc_co_u32_e32 v11, vcc, v5, v7, vcc
	buffer_load_dword v4, off, s[0:3], s33 offset:128 ; 4-byte Folded Reload
	buffer_load_dword v5, off, s[0:3], s33 offset:132 ; 4-byte Folded Reload
	s_mov_b64 s[56:57], 0
	s_waitcnt vmcnt(1)
	v_add_co_u32_e32 v12, vcc, v6, v4
	s_waitcnt vmcnt(0)
	v_addc_co_u32_e32 v13, vcc, v7, v5, vcc
	s_branch .LBB10_776
.LBB10_775:                             ;   in Loop: Header=BB10_776 Depth=2
	s_or_b64 exec, exec, s[58:59]
	v_add_co_u32_e32 v0, vcc, v0, v54
	v_addc_co_u32_e32 v1, vcc, 0, v1, vcc
	v_add_co_u32_e32 v10, vcc, v10, v54
	v_addc_co_u32_e32 v11, vcc, 0, v11, vcc
	v_sub_u32_e32 v2, v2, v54
	v_cmp_gt_i32_e32 vcc, 2, v2
	flat_store_short_d16_hi v[12:13], v15 glc slc
	s_or_b64 s[56:57], vcc, s[56:57]
	v_add_co_u32_e32 v12, vcc, v12, v54
	v_addc_co_u32_e32 v13, vcc, 0, v13, vcc
	s_andn2_b64 exec, exec, s[56:57]
	s_cbranch_execz .LBB10_780
.LBB10_776:                             ;   Parent Loop BB10_459 Depth=1
                                        ; =>  This Inner Loop Header: Depth=2
	flat_load_ushort v4, v[10:11] glc slc
	flat_load_ushort v5, v[0:1] glc slc
                                        ; implicit-def: $vgpr15
	s_waitcnt vmcnt(0) lgkmcnt(0)
	v_lshlrev_b32_e32 v4, 16, v4
	v_lshlrev_b32_e32 v5, 16, v5
	v_add_f32_e32 v14, v5, v4
	v_and_b32_e32 v4, 0x7f800000, v14
	v_cmp_ne_u32_e32 vcc, s95, v4
	s_and_saveexec_b64 s[58:59], vcc
	s_xor_b64 s[58:59], exec, s[58:59]
; %bb.777:                              ;   in Loop: Header=BB10_776 Depth=2
	v_bfe_u32 v4, v14, 16, 1
	v_add3_u32 v15, v14, v4, s31
                                        ; implicit-def: $vgpr14
; %bb.778:                              ;   in Loop: Header=BB10_776 Depth=2
	s_andn2_saveexec_b64 s[58:59], s[58:59]
	s_cbranch_execz .LBB10_775
; %bb.779:                              ;   in Loop: Header=BB10_776 Depth=2
	v_or_b32_e32 v4, 0x10000, v14
	v_cmp_eq_u32_sdwa vcc, v14, v3 src0_sel:WORD_0 src1_sel:DWORD
	v_cndmask_b32_e32 v15, v4, v14, vcc
	s_branch .LBB10_775
.LBB10_780:                             ;   in Loop: Header=BB10_459 Depth=1
	s_or_b64 exec, exec, s[18:19]
	v_cmp_ne_u32_e64 s[18:19], 0, v8
	s_and_saveexec_b64 s[56:57], s[10:11]
	s_cbranch_execz .LBB10_799
.LBB10_781:                             ;   in Loop: Header=BB10_459 Depth=1
	s_and_saveexec_b64 s[58:59], s[28:29]
	s_xor_b64 s[58:59], exec, s[58:59]
	s_cbranch_execz .LBB10_796
; %bb.782:                              ;   in Loop: Header=BB10_459 Depth=1
	s_and_saveexec_b64 s[60:61], s[12:13]
	s_cbranch_execz .LBB10_795
; %bb.783:                              ;   in Loop: Header=BB10_459 Depth=1
	s_mov_b64 s[72:73], exec
	v_mbcnt_lo_u32_b32 v0, s72, 0
	v_mbcnt_hi_u32_b32 v0, s73, v0
	v_cmp_eq_u32_e32 vcc, 0, v0
	s_waitcnt vmcnt(0) lgkmcnt(0)
	buffer_wbinvl1_vol
	s_and_saveexec_b64 s[62:63], vcc
	s_cbranch_execz .LBB10_785
; %bb.784:                              ;   in Loop: Header=BB10_459 Depth=1
	s_bcnt1_i32_b64 s72, s[72:73]
	v_mov_b32_e32 v2, s72
	ds_add_u64 v0, v[2:3]
	s_trap 2
.LBB10_785:                             ;   in Loop: Header=BB10_459 Depth=1
	s_or_b64 exec, exec, s[62:63]
	s_trap 2
	ds_read_b64 v[0:1], v0
	s_waitcnt lgkmcnt(0)
	v_mov_b32_e32 v4, v44
	v_mov_b32_e32 v5, v45
	v_add_co_u32_e32 v4, vcc, v4, v57
	v_addc_co_u32_e32 v5, vcc, 0, v5, vcc
	v_mov_b32_e32 v45, v5
	v_cmp_lt_u64_e32 vcc, v[0:1], v[4:5]
	v_mov_b32_e32 v44, v4
	s_and_saveexec_b64 s[62:63], vcc
	s_cbranch_execz .LBB10_794
; %bb.786:                              ;   in Loop: Header=BB10_459 Depth=1
	s_mov_b32 s92, 0
	s_mov_b64 s[72:73], 0
                                        ; implicit-def: $sgpr74_sgpr75
                                        ; implicit-def: $sgpr76_sgpr77
	s_branch .LBB10_788
.LBB10_787:                             ;   in Loop: Header=BB10_788 Depth=2
	s_or_b64 exec, exec, s[88:89]
	s_and_b64 s[78:79], exec, s[90:91]
	s_or_b64 s[72:73], s[78:79], s[72:73]
	s_andn2_b64 s[74:75], s[74:75], exec
	s_and_b64 s[78:79], s[76:77], exec
	s_or_b64 s[74:75], s[74:75], s[78:79]
	s_andn2_b64 exec, exec, s[72:73]
	s_cbranch_execz .LBB10_792
.LBB10_788:                             ;   Parent Loop BB10_459 Depth=1
                                        ; =>  This Inner Loop Header: Depth=2
	s_add_i32 s92, s92, 1
	s_cmpk_lg_i32 s92, 0x2710
	s_cselect_b64 s[78:79], -1, 0
	s_and_b64 vcc, exec, s[78:79]
	s_cbranch_vccz .LBB10_790
; %bb.789:                              ;   in Loop: Header=BB10_788 Depth=2
	s_mov_b64 s[90:91], -1
	s_or_b64 s[76:77], s[76:77], exec
	s_and_saveexec_b64 s[88:89], s[78:79]
	s_cbranch_execz .LBB10_787
	s_branch .LBB10_791
.LBB10_790:                             ;   in Loop: Header=BB10_788 Depth=2
	s_trap 2
	ds_read_b64 v[0:1], v0
	s_andn2_b64 s[78:79], s[78:79], exec
	s_mov_b32 s92, 0
	s_waitcnt lgkmcnt(0)
	flat_load_dword v0, v[0:1] glc
	s_waitcnt vmcnt(0) lgkmcnt(0)
	buffer_wbinvl1_vol
	v_cmp_eq_u32_e32 vcc, 0, v0
	s_and_b64 s[88:89], vcc, exec
	s_or_b64 s[78:79], s[78:79], s[88:89]
	s_mov_b64 s[90:91], -1
	s_or_b64 s[76:77], s[76:77], exec
	s_and_saveexec_b64 s[88:89], s[78:79]
	s_cbranch_execz .LBB10_787
.LBB10_791:                             ;   in Loop: Header=BB10_788 Depth=2
	s_sleep 1
	s_trap 2
	ds_read_b64 v[0:1], v0
	s_waitcnt lgkmcnt(0)
	s_andn2_b64 s[76:77], s[76:77], exec
	v_cmp_ge_u64_e32 vcc, v[0:1], v[44:45]
	s_orn2_b64 s[90:91], vcc, exec
	s_branch .LBB10_787
.LBB10_792:                             ;   in Loop: Header=BB10_459 Depth=1
	s_or_b64 exec, exec, s[72:73]
	s_and_saveexec_b64 s[72:73], s[74:75]
	s_xor_b64 s[72:73], exec, s[72:73]
	s_cbranch_execz .LBB10_794
; %bb.793:                              ;   in Loop: Header=BB10_459 Depth=1
	v_mov_b32_e32 v0, 1
	ds_write_b32 v0, v0
	s_trap 2
.LBB10_794:                             ;   in Loop: Header=BB10_459 Depth=1
	s_or_b64 exec, exec, s[62:63]
	;;#ASMSTART
	s_wakeup
	;;#ASMEND
.LBB10_795:                             ;   in Loop: Header=BB10_459 Depth=1
	s_or_b64 exec, exec, s[60:61]
.LBB10_796:                             ;   in Loop: Header=BB10_459 Depth=1
	s_andn2_saveexec_b64 s[58:59], s[58:59]
	s_cbranch_execz .LBB10_798
; %bb.797:                              ;   in Loop: Header=BB10_459 Depth=1
	s_waitcnt vmcnt(0) lgkmcnt(0)
	buffer_wbinvl1_vol
	s_barrier
.LBB10_798:                             ;   in Loop: Header=BB10_459 Depth=1
	s_or_b64 exec, exec, s[58:59]
.LBB10_799:                             ;   in Loop: Header=BB10_459 Depth=1
	s_or_b64 exec, exec, s[56:57]
	v_and_b32_e32 v0, 16, v56
	v_cmp_ne_u32_e32 vcc, 0, v0
	s_and_b64 s[56:57], vcc, s[18:19]
	s_and_saveexec_b64 s[18:19], s[56:57]
	s_cbranch_execz .LBB10_801
; %bb.800:                              ;   in Loop: Header=BB10_459 Depth=1
	s_waitcnt vmcnt(0) lgkmcnt(0)
	buffer_wbinvl1_vol
.LBB10_801:                             ;   in Loop: Header=BB10_459 Depth=1
	s_or_b64 exec, exec, s[18:19]
	v_and_b32_e32 v0, 32, v56
	v_cmp_ne_u32_e32 vcc, 0, v0
	s_and_saveexec_b64 s[18:19], vcc
	s_cbranch_execz .LBB10_803
; %bb.802:                              ;   in Loop: Header=BB10_459 Depth=1
	buffer_load_dword v4, off, s[0:3], s33 offset:60 ; 4-byte Folded Reload
	buffer_load_dword v5, off, s[0:3], s33 offset:64 ; 4-byte Folded Reload
	;; [unrolled: 1-line block ×4, first 2 shown]
	s_waitcnt vmcnt(0)
	v_add_co_u32_e32 v6, vcc, 1, v6
	v_addc_co_u32_e32 v7, vcc, 0, v7, vcc
	buffer_store_dword v4, off, s[0:3], s33 offset:60 ; 4-byte Folded Spill
	s_nop 0
	buffer_store_dword v5, off, s[0:3], s33 offset:64 ; 4-byte Folded Spill
	buffer_store_dword v6, off, s[0:3], s33 offset:68 ; 4-byte Folded Spill
	;; [unrolled: 1-line block ×3, first 2 shown]
	flat_store_dwordx2 v[40:41], v[6:7]
.LBB10_803:                             ;   in Loop: Header=BB10_459 Depth=1
	s_or_b64 exec, exec, s[18:19]
	v_mov_b32_e32 v12, v43
.LBB10_804:                             ;   in Loop: Header=BB10_459 Depth=1
	s_or_b64 exec, exec, s[46:47]
	s_and_saveexec_b64 s[46:47], s[44:45]
	s_cbranch_execz .LBB10_458
; %bb.805:                              ;   in Loop: Header=BB10_459 Depth=1
	v_and_b32_e32 v0, 4, v56
	v_cmp_ne_u32_e32 vcc, 0, v0
	s_and_saveexec_b64 s[44:45], vcc
	s_cbranch_execz .LBB10_827
; %bb.806:                              ;   in Loop: Header=BB10_459 Depth=1
	buffer_load_dword v4, off, s[0:3], s33 offset:60 ; 4-byte Folded Reload
	buffer_load_dword v5, off, s[0:3], s33 offset:64 ; 4-byte Folded Reload
	;; [unrolled: 1-line block ×4, first 2 shown]
	s_waitcnt vmcnt(0)
	v_add_co_u32_e32 v0, vcc, 1, v6
	v_addc_co_u32_e32 v1, vcc, 0, v7, vcc
	v_cmp_lt_u64_e32 vcc, v[46:47], v[0:1]
	s_and_saveexec_b64 s[56:57], vcc
	s_cbranch_execz .LBB10_818
; %bb.807:                              ;   in Loop: Header=BB10_459 Depth=1
	v_and_b32_e32 v2, 64, v56
	s_mov_b32 s92, 0
	v_cmp_eq_u32_e32 vcc, 0, v2
	s_mov_b64 s[58:59], 0
                                        ; implicit-def: $sgpr60_sgpr61
                                        ; implicit-def: $sgpr62_sgpr63
                                        ; implicit-def: $sgpr72_sgpr73
	s_branch .LBB10_811
.LBB10_808:                             ;   in Loop: Header=BB10_811 Depth=2
	s_waitcnt vmcnt(0) lgkmcnt(0)
	v_cmp_ge_u64_e64 s[18:19], v[46:47], v[0:1]
	s_or_b64 s[78:79], s[78:79], exec
	s_orn2_b64 s[76:77], s[18:19], exec
.LBB10_809:                             ;   in Loop: Header=BB10_811 Depth=2
	s_or_b64 exec, exec, s[90:91]
	s_andn2_b64 s[18:19], s[72:73], exec
	s_and_b64 s[72:73], s[78:79], exec
	s_or_b64 s[72:73], s[18:19], s[72:73]
	s_andn2_b64 s[18:19], s[62:63], exec
	s_and_b64 s[62:63], s[76:77], exec
	s_or_b64 s[62:63], s[18:19], s[62:63]
.LBB10_810:                             ;   in Loop: Header=BB10_811 Depth=2
	s_or_b64 exec, exec, s[74:75]
	s_and_b64 s[18:19], exec, s[62:63]
	s_or_b64 s[58:59], s[18:19], s[58:59]
	s_andn2_b64 s[18:19], s[60:61], exec
	s_and_b64 s[60:61], s[72:73], exec
	s_or_b64 s[60:61], s[18:19], s[60:61]
	s_andn2_b64 exec, exec, s[58:59]
	s_cbranch_execz .LBB10_815
.LBB10_811:                             ;   Parent Loop BB10_459 Depth=1
                                        ; =>  This Inner Loop Header: Depth=2
	s_sleep 1
	s_waitcnt vmcnt(0) lgkmcnt(0)
	flat_load_dwordx2 v[46:47], v[40:41] glc
	s_or_b64 s[72:73], s[72:73], exec
	s_or_b64 s[62:63], s[62:63], exec
                                        ; implicit-def: $vgpr2
	s_and_saveexec_b64 s[74:75], vcc
	s_cbranch_execz .LBB10_810
; %bb.812:                              ;   in Loop: Header=BB10_811 Depth=2
	s_cmpk_lt_i32 s92, 0x270f
	s_cselect_b64 s[88:89], -1, 0
	s_cmpk_gt_i32 s92, 0x270e
	s_mov_b64 s[76:77], -1
	s_cbranch_scc0 .LBB10_814
; %bb.813:                              ;   in Loop: Header=BB10_811 Depth=2
	s_trap 2
	ds_read_b64 v[4:5], v0
	s_andn2_b64 s[88:89], s[88:89], exec
	s_mov_b32 s92, 0
	s_mov_b64 s[78:79], 0
	s_waitcnt vmcnt(0) lgkmcnt(0)
	flat_load_dword v2, v[4:5] glc
	s_waitcnt vmcnt(0) lgkmcnt(0)
	buffer_wbinvl1_vol
	v_cmp_eq_u32_e64 s[18:19], 0, v2
	s_and_b64 s[18:19], s[18:19], exec
	s_or_b64 s[88:89], s[88:89], s[18:19]
	s_and_saveexec_b64 s[90:91], s[88:89]
	s_cbranch_execz .LBB10_809
	s_branch .LBB10_808
.LBB10_814:                             ;   in Loop: Header=BB10_811 Depth=2
	s_add_i32 s92, s92, 1
	s_mov_b64 s[78:79], -1
                                        ; implicit-def: $vgpr2
	s_and_saveexec_b64 s[90:91], s[88:89]
	s_cbranch_execz .LBB10_809
	s_branch .LBB10_808
.LBB10_815:                             ;   in Loop: Header=BB10_459 Depth=1
	s_or_b64 exec, exec, s[58:59]
	s_xor_b64 s[18:19], s[60:61], -1
	s_and_saveexec_b64 s[58:59], s[18:19]
	s_xor_b64 s[18:19], exec, s[58:59]
	s_cbranch_execz .LBB10_817
; %bb.816:                              ;   in Loop: Header=BB10_459 Depth=1
	v_or_b32_e32 v56, 64, v56
	s_waitcnt lgkmcnt(0)
	ds_write_b32 v0, v2
	s_trap 2
.LBB10_817:                             ;   in Loop: Header=BB10_459 Depth=1
	s_or_b64 exec, exec, s[18:19]
.LBB10_818:                             ;   in Loop: Header=BB10_459 Depth=1
	s_or_b64 exec, exec, s[56:57]
	;;#ASMSTART
	s_wakeup
	;;#ASMEND
	buffer_load_dword v4, off, s[0:3], s33 offset:60 ; 4-byte Folded Reload
	buffer_load_dword v5, off, s[0:3], s33 offset:64 ; 4-byte Folded Reload
	;; [unrolled: 1-line block ×4, first 2 shown]
	v_and_b32_e32 v2, 0x100, v56
	v_cmp_ne_u32_e32 vcc, 0, v2
	s_mov_b64 s[18:19], -1
                                        ; implicit-def: $vgpr8_vgpr9
	s_waitcnt vmcnt(0)
	v_and_b32_e32 v2, 7, v6
	s_and_saveexec_b64 s[56:57], vcc
	s_cbranch_execz .LBB10_822
; %bb.819:                              ;   in Loop: Header=BB10_459 Depth=1
	buffer_load_dword v4, off, s[0:3], s33 offset:60 ; 4-byte Folded Reload
	buffer_load_dword v5, off, s[0:3], s33 offset:64 ; 4-byte Folded Reload
	;; [unrolled: 1-line block ×4, first 2 shown]
                                        ; implicit-def: $vgpr8_vgpr9
	s_waitcnt vmcnt(0)
	v_mad_u64_u32 v[10:11], s[18:19], v2, 24, v[4:5]
	flat_load_dword v4, v[10:11]
	s_waitcnt vmcnt(0) lgkmcnt(0)
	v_cmp_ne_u32_e32 vcc, 1, v4
	v_cmp_eq_u32_e64 s[18:19], 1, v4
	s_and_saveexec_b64 s[58:59], s[18:19]
	s_cbranch_execz .LBB10_821
; %bb.820:                              ;   in Loop: Header=BB10_459 Depth=1
	flat_load_dword v4, v[10:11] offset:4 glc
	s_waitcnt vmcnt(0) lgkmcnt(0)
	v_ashrrev_i32_e32 v5, 31, v4
	v_lshrrev_b64 v[8:9], 1, v[4:5]
.LBB10_821:                             ;   in Loop: Header=BB10_459 Depth=1
	s_or_b64 exec, exec, s[58:59]
	s_orn2_b64 s[18:19], vcc, exec
.LBB10_822:                             ;   in Loop: Header=BB10_459 Depth=1
	s_or_b64 exec, exec, s[56:57]
	s_and_saveexec_b64 s[56:57], s[18:19]
	s_cbranch_execz .LBB10_824
; %bb.823:                              ;   in Loop: Header=BB10_459 Depth=1
	buffer_load_dword v4, off, s[0:3], s33 offset:116 ; 4-byte Folded Reload
	s_waitcnt vmcnt(0)
	v_mad_i64_i32 v[8:9], s[18:19], v2, v4, 0
.LBB10_824:                             ;   in Loop: Header=BB10_459 Depth=1
	s_or_b64 exec, exec, s[56:57]
	buffer_load_dword v6, off, s[0:3], s33 offset:100 ; 4-byte Folded Reload
	buffer_load_dword v7, off, s[0:3], s33 offset:104 ; 4-byte Folded Reload
	v_lshlrev_b64 v[4:5], 1, v[8:9]
	v_and_b32_e32 v2, 0x2000, v56
	s_waitcnt vmcnt(0)
	v_add_co_u32_e32 v4, vcc, v6, v4
	v_addc_co_u32_e32 v5, vcc, v7, v5, vcc
	v_cmp_ne_u32_e32 vcc, 0, v2
	ds_write_b64 v0, v[4:5] offset:728
	s_and_saveexec_b64 s[18:19], vcc
	s_cbranch_execz .LBB10_826
; %bb.825:                              ;   in Loop: Header=BB10_459 Depth=1
	ds_read_b64 v[4:5], v0 offset:872
	s_waitcnt lgkmcnt(0)
	v_add_co_u32_e32 v4, vcc, 1, v4
	v_addc_co_u32_e32 v5, vcc, 0, v5, vcc
	ds_write_b64 v0, v[4:5] offset:872
.LBB10_826:                             ;   in Loop: Header=BB10_459 Depth=1
	s_or_b64 exec, exec, s[18:19]
	buffer_load_dword v4, off, s[0:3], s33 offset:60 ; 4-byte Folded Reload
	buffer_load_dword v5, off, s[0:3], s33 offset:64 ; 4-byte Folded Reload
	;; [unrolled: 1-line block ×4, first 2 shown]
	s_waitcnt vmcnt(0)
	v_mov_b32_e32 v7, v1
	v_mov_b32_e32 v6, v0
	buffer_store_dword v4, off, s[0:3], s33 offset:60 ; 4-byte Folded Spill
	s_nop 0
	buffer_store_dword v5, off, s[0:3], s33 offset:64 ; 4-byte Folded Spill
	buffer_store_dword v6, off, s[0:3], s33 offset:68 ; 4-byte Folded Spill
	;; [unrolled: 1-line block ×3, first 2 shown]
.LBB10_827:                             ;   in Loop: Header=BB10_459 Depth=1
	s_or_b64 exec, exec, s[44:45]
	s_and_saveexec_b64 s[18:19], s[10:11]
	s_cbranch_execz .LBB10_846
; %bb.828:                              ;   in Loop: Header=BB10_459 Depth=1
	s_and_saveexec_b64 s[44:45], s[28:29]
	s_xor_b64 s[44:45], exec, s[44:45]
	s_cbranch_execz .LBB10_843
; %bb.829:                              ;   in Loop: Header=BB10_459 Depth=1
	s_and_saveexec_b64 s[56:57], s[12:13]
	s_cbranch_execz .LBB10_842
; %bb.830:                              ;   in Loop: Header=BB10_459 Depth=1
	s_mov_b64 s[60:61], exec
	v_mbcnt_lo_u32_b32 v0, s60, 0
	v_mbcnt_hi_u32_b32 v0, s61, v0
	v_cmp_eq_u32_e32 vcc, 0, v0
	s_waitcnt vmcnt(0) lgkmcnt(0)
	buffer_wbinvl1_vol
	s_and_saveexec_b64 s[58:59], vcc
	s_cbranch_execz .LBB10_832
; %bb.831:                              ;   in Loop: Header=BB10_459 Depth=1
	s_bcnt1_i32_b64 s60, s[60:61]
	v_mov_b32_e32 v2, s60
	ds_add_u64 v0, v[2:3]
	s_trap 2
.LBB10_832:                             ;   in Loop: Header=BB10_459 Depth=1
	s_or_b64 exec, exec, s[58:59]
	s_trap 2
	ds_read_b64 v[0:1], v0
	s_waitcnt lgkmcnt(0)
	v_mov_b32_e32 v4, v44
	v_mov_b32_e32 v5, v45
	v_add_co_u32_e32 v4, vcc, v4, v57
	v_addc_co_u32_e32 v5, vcc, 0, v5, vcc
	v_mov_b32_e32 v45, v5
	v_cmp_lt_u64_e32 vcc, v[0:1], v[4:5]
	v_mov_b32_e32 v44, v4
	s_and_saveexec_b64 s[58:59], vcc
	s_cbranch_execz .LBB10_841
; %bb.833:                              ;   in Loop: Header=BB10_459 Depth=1
	s_mov_b32 s88, 0
	s_mov_b64 s[60:61], 0
                                        ; implicit-def: $sgpr62_sgpr63
                                        ; implicit-def: $sgpr72_sgpr73
	s_branch .LBB10_835
.LBB10_834:                             ;   in Loop: Header=BB10_835 Depth=2
	s_or_b64 exec, exec, s[76:77]
	s_and_b64 s[74:75], exec, s[78:79]
	s_or_b64 s[60:61], s[74:75], s[60:61]
	s_andn2_b64 s[62:63], s[62:63], exec
	s_and_b64 s[74:75], s[72:73], exec
	s_or_b64 s[62:63], s[62:63], s[74:75]
	s_andn2_b64 exec, exec, s[60:61]
	s_cbranch_execz .LBB10_839
.LBB10_835:                             ;   Parent Loop BB10_459 Depth=1
                                        ; =>  This Inner Loop Header: Depth=2
	s_add_i32 s88, s88, 1
	s_cmpk_lg_i32 s88, 0x2710
	s_cselect_b64 s[74:75], -1, 0
	s_and_b64 vcc, exec, s[74:75]
	s_cbranch_vccz .LBB10_837
; %bb.836:                              ;   in Loop: Header=BB10_835 Depth=2
	s_mov_b64 s[78:79], -1
	s_or_b64 s[72:73], s[72:73], exec
	s_and_saveexec_b64 s[76:77], s[74:75]
	s_cbranch_execz .LBB10_834
	s_branch .LBB10_838
.LBB10_837:                             ;   in Loop: Header=BB10_835 Depth=2
	s_trap 2
	ds_read_b64 v[0:1], v0
	s_andn2_b64 s[74:75], s[74:75], exec
	s_mov_b32 s88, 0
	s_waitcnt lgkmcnt(0)
	flat_load_dword v0, v[0:1] glc
	s_waitcnt vmcnt(0) lgkmcnt(0)
	buffer_wbinvl1_vol
	v_cmp_eq_u32_e32 vcc, 0, v0
	s_and_b64 s[76:77], vcc, exec
	s_or_b64 s[74:75], s[74:75], s[76:77]
	s_mov_b64 s[78:79], -1
	s_or_b64 s[72:73], s[72:73], exec
	s_and_saveexec_b64 s[76:77], s[74:75]
	s_cbranch_execz .LBB10_834
.LBB10_838:                             ;   in Loop: Header=BB10_835 Depth=2
	s_sleep 1
	s_trap 2
	ds_read_b64 v[0:1], v0
	s_waitcnt lgkmcnt(0)
	s_andn2_b64 s[72:73], s[72:73], exec
	v_cmp_ge_u64_e32 vcc, v[0:1], v[44:45]
	s_orn2_b64 s[78:79], vcc, exec
	s_branch .LBB10_834
.LBB10_839:                             ;   in Loop: Header=BB10_459 Depth=1
	s_or_b64 exec, exec, s[60:61]
	s_and_saveexec_b64 s[60:61], s[62:63]
	s_xor_b64 s[60:61], exec, s[60:61]
	s_cbranch_execz .LBB10_841
; %bb.840:                              ;   in Loop: Header=BB10_459 Depth=1
	v_mov_b32_e32 v0, 1
	ds_write_b32 v0, v0
	s_trap 2
.LBB10_841:                             ;   in Loop: Header=BB10_459 Depth=1
	s_or_b64 exec, exec, s[58:59]
	;;#ASMSTART
	s_wakeup
	;;#ASMEND
.LBB10_842:                             ;   in Loop: Header=BB10_459 Depth=1
	s_or_b64 exec, exec, s[56:57]
.LBB10_843:                             ;   in Loop: Header=BB10_459 Depth=1
	s_andn2_saveexec_b64 s[44:45], s[44:45]
	s_cbranch_execz .LBB10_845
; %bb.844:                              ;   in Loop: Header=BB10_459 Depth=1
	s_waitcnt vmcnt(0) lgkmcnt(0)
	buffer_wbinvl1_vol
	s_barrier
.LBB10_845:                             ;   in Loop: Header=BB10_459 Depth=1
	s_or_b64 exec, exec, s[44:45]
.LBB10_846:                             ;   in Loop: Header=BB10_459 Depth=1
	s_or_b64 exec, exec, s[18:19]
	s_trap 2
	ds_read_b32 v0, v0
	v_sub_u32_e32 v1, v60, v12
	v_min_i32_e32 v1, v43, v1
	v_cmp_lt_i32_e32 vcc, 0, v1
	s_waitcnt lgkmcnt(0)
	v_readfirstlane_b32 s18, v0
	s_cmp_eq_u32 s18, 0
	s_cselect_b64 s[18:19], -1, 0
	v_and_b32_e32 v0, 16, v56
	s_and_b64 s[18:19], vcc, s[18:19]
	v_cmp_ne_u32_e32 vcc, 0, v0
	s_and_b64 s[44:45], vcc, s[18:19]
	s_and_saveexec_b64 s[18:19], s[44:45]
	s_cbranch_execz .LBB10_848
; %bb.847:                              ;   in Loop: Header=BB10_459 Depth=1
	s_waitcnt vmcnt(0)
	buffer_wbinvl1_vol
.LBB10_848:                             ;   in Loop: Header=BB10_459 Depth=1
	s_or_b64 exec, exec, s[18:19]
	v_and_b32_e32 v0, 32, v56
	v_cmp_ne_u32_e32 vcc, 0, v0
	s_and_saveexec_b64 s[18:19], vcc
	s_cbranch_execz .LBB10_457
; %bb.849:                              ;   in Loop: Header=BB10_459 Depth=1
	buffer_load_dword v4, off, s[0:3], s33 offset:60 ; 4-byte Folded Reload
	buffer_load_dword v5, off, s[0:3], s33 offset:64 ; 4-byte Folded Reload
	;; [unrolled: 1-line block ×4, first 2 shown]
	s_waitcnt vmcnt(0)
	v_add_co_u32_e32 v6, vcc, 1, v6
	v_addc_co_u32_e32 v7, vcc, 0, v7, vcc
	buffer_store_dword v4, off, s[0:3], s33 offset:60 ; 4-byte Folded Spill
	s_nop 0
	buffer_store_dword v5, off, s[0:3], s33 offset:64 ; 4-byte Folded Spill
	buffer_store_dword v6, off, s[0:3], s33 offset:68 ; 4-byte Folded Spill
	;; [unrolled: 1-line block ×3, first 2 shown]
	flat_store_dwordx2 v[40:41], v[6:7]
	s_branch .LBB10_457
.LBB10_850:
	s_or_b64 exec, exec, s[40:41]
	buffer_load_dword v52, off, s[0:3], s33 offset:148 ; 4-byte Folded Reload
	buffer_load_dword v53, off, s[0:3], s33 offset:152 ; 4-byte Folded Reload
	;; [unrolled: 1-line block ×5, first 2 shown]
.LBB10_851:
	s_or_b64 exec, exec, s[26:27]
.LBB10_852:
	s_or_b64 exec, exec, s[20:21]
                                        ; implicit-def: $vgpr0_vgpr1
                                        ; implicit-def: $vgpr58_vgpr59
                                        ; implicit-def: $vgpr50_vgpr51
                                        ; kill: killed $vgpr0_vgpr1
                                        ; implicit-def: $vgpr43
                                        ; implicit-def: $vgpr46_vgpr47
                                        ; implicit-def: $vgpr40_vgpr41
                                        ; implicit-def: $vgpr42
                                        ; implicit-def: $vgpr21
                                        ; implicit-def: $vgpr60
                                        ; implicit-def: $vgpr0_vgpr1
                                        ; kill: killed $vgpr0_vgpr1
.LBB10_853:
	s_andn2_saveexec_b64 s[24:25], s[24:25]
	s_cbranch_execz .LBB10_1027
; %bb.854:
	v_mov_b32_e32 v44, 0
	v_cmp_ne_u64_e32 vcc, 0, v[50:51]
	v_mov_b32_e32 v45, 0
	s_and_saveexec_b64 s[26:27], vcc
	s_cbranch_execz .LBB10_1026
; %bb.855:
	s_waitcnt vmcnt(0)
	v_and_b32_e32 v0, 63, v31
	v_cmp_eq_u32_e64 s[12:13], 0, v0
	v_ashrrev_i32_e32 v0, 31, v42
	v_lshrrev_b32_e32 v0, 26, v0
	v_add_u32_e32 v0, v42, v0
	v_and_b32_e32 v1, 0xffffffc0, v0
	v_ashrrev_i32_e32 v55, 6, v0
	v_sub_u32_e32 v1, v42, v1
	v_lshlrev_b32_e32 v0, 13, v55
	s_trap 2
	buffer_store_dword v23, off, s[0:3], s33 offset:160 ; 4-byte Folded Spill
	buffer_store_dword v31, off, s[0:3], s33 offset:156 ; 4-byte Folded Spill
	;; [unrolled: 1-line block ×3, first 2 shown]
	v_lshl_add_u32 v38, v1, 4, v0
	v_lshlrev_b32_e32 v0, 1, v54
	v_cmp_gt_i32_e64 s[14:15], 1, v1
	v_cmp_lt_i32_e64 s[16:17], v1, v21
	v_and_b32_e32 v39, 0x7f80, v0
	buffer_load_dword v0, off, s[0:3], s33 offset:108 ; 4-byte Folded Reload
	buffer_load_dword v1, off, s[0:3], s33 offset:112 ; 4-byte Folded Reload
	s_lshr_b32 s6, s30, 27
	s_add_i32 s30, s30, s6
	v_cmp_eq_u32_e32 vcc, 64, v54
	v_lshrrev_b32_e32 v57, 6, v54
	v_mov_b32_e32 v10, 0
	v_mov_b32_e32 v44, 0
	s_ashr_i32 s94, s30, 5
	v_cmp_ge_i32_e64 s[6:7], v42, v54
	v_cmp_ne_u32_e64 s[10:11], 64, v54
	v_cmp_ne_u32_sdwa s[28:29], v54, v23 src0_sel:DWORD src1_sel:WORD_0
	v_mov_b32_e32 v7, 0
	v_ashrrev_i32_e32 v27, 31, v38
	v_lshlrev_b32_e32 v28, 13, v57
	v_lshlrev_b32_e32 v19, 10, v57
	;; [unrolled: 1-line block ×3, first 2 shown]
	s_mov_b64 s[40:41], 0
	v_mov_b32_e32 v11, 0
	v_mov_b32_e32 v45, 0
	;; [unrolled: 1-line block ×3, first 2 shown]
	s_xor_b64 s[42:43], vcc, -1
	s_movk_i32 s95, 0x1000
	buffer_store_dword v42, off, s[0:3], s33 offset:136 ; 4-byte Folded Spill
	buffer_store_dword v50, off, s[0:3], s33 offset:76 ; 4-byte Folded Spill
	s_nop 0
	buffer_store_dword v51, off, s[0:3], s33 offset:80 ; 4-byte Folded Spill
	buffer_store_dword v52, off, s[0:3], s33 offset:84 ; 4-byte Folded Spill
	;; [unrolled: 1-line block ×4, first 2 shown]
	s_nop 0
	buffer_store_dword v59, off, s[0:3], s33 offset:124 ; 4-byte Folded Spill
	buffer_store_dword v52, off, s[0:3], s33 offset:148 ; 4-byte Folded Spill
	s_nop 0
	buffer_store_dword v53, off, s[0:3], s33 offset:152 ; 4-byte Folded Spill
	buffer_store_dword v43, off, s[0:3], s33 offset:116 ; 4-byte Folded Spill
	;; [unrolled: 1-line block ×3, first 2 shown]
	s_nop 0
	buffer_store_dword v61, off, s[0:3], s33 offset:96 ; 4-byte Folded Spill
	buffer_store_dword v55, off, s[0:3], s33 offset:164 ; 4-byte Folded Spill
	s_waitcnt vmcnt(0)
	v_cmp_ne_u64_e64 s[18:19], 0, v[0:1]
	s_branch .LBB10_859
.LBB10_856:                             ;   in Loop: Header=BB10_859 Depth=1
	s_or_b64 exec, exec, s[44:45]
	s_waitcnt vmcnt(0)
	v_add_co_u32_e32 v17, vcc, 1, v17
	v_addc_co_u32_e32 v18, vcc, 0, v18, vcc
	flat_store_dwordx2 v[40:41], v[17:18]
.LBB10_857:                             ;   in Loop: Header=BB10_859 Depth=1
	s_or_b64 exec, exec, s[20:21]
	s_waitcnt vmcnt(0)
	buffer_store_dword v15, off, s[0:3], s33 offset:60 ; 4-byte Folded Spill
	s_nop 0
	buffer_store_dword v16, off, s[0:3], s33 offset:64 ; 4-byte Folded Spill
	buffer_store_dword v17, off, s[0:3], s33 offset:68 ; 4-byte Folded Spill
	;; [unrolled: 1-line block ×3, first 2 shown]
.LBB10_858:                             ;   in Loop: Header=BB10_859 Depth=1
	s_or_b64 exec, exec, s[46:47]
	s_waitcnt vmcnt(0)
	v_add_co_u32_e32 v10, vcc, v10, v60
	v_addc_co_u32_e32 v11, vcc, 0, v11, vcc
	v_cmp_ge_u64_e32 vcc, v[10:11], v[50:51]
	s_or_b64 s[40:41], vcc, s[40:41]
	s_andn2_b64 exec, exec, s[40:41]
	s_cbranch_execz .LBB10_1025
.LBB10_859:                             ; =>This Loop Header: Depth=1
                                        ;     Child Loop BB10_868 Depth 2
                                        ;     Child Loop BB10_892 Depth 2
	;; [unrolled: 1-line block ×10, first 2 shown]
	v_sub_co_u32_e32 v0, vcc, v50, v10
	v_subb_co_u32_e32 v1, vcc, v51, v11, vcc
	v_cmp_lt_u64_e32 vcc, v[60:61], v[0:1]
	v_cndmask_b32_e64 v13, v1, 0, vcc
	v_cndmask_b32_e32 v12, v0, v60, vcc
	v_cmp_eq_u64_e32 vcc, 0, v[12:13]
	v_add_u32_e32 v0, 15, v12
	v_and_b32_e32 v0, 0x3ffffff0, v0
	s_or_b64 s[44:45], s[6:7], vcc
	v_max_i32_e32 v29, s94, v0
	s_xor_b64 s[20:21], s[44:45], -1
	v_mov_b32_e32 v0, 0
	s_and_saveexec_b64 s[46:47], s[20:21]
	s_cbranch_execz .LBB10_978
; %bb.860:                              ;   in Loop: Header=BB10_859 Depth=1
	s_and_saveexec_b64 s[20:21], s[4:5]
	s_cbranch_execz .LBB10_862
; %bb.861:                              ;   in Loop: Header=BB10_859 Depth=1
	s_trap 2
	ds_read_b64 v[0:1], v0
	v_lshlrev_b64 v[2:3], 1, v[58:59]
	v_mov_b32_e32 v6, v7
	s_waitcnt lgkmcnt(0)
	v_add_co_u32_e32 v2, vcc, v0, v2
	v_addc_co_u32_e32 v3, vcc, v1, v3, vcc
	v_lshlrev_b64 v[0:1], 1, v[10:11]
	v_add_co_u32_e32 v0, vcc, v2, v0
	v_addc_co_u32_e32 v1, vcc, v3, v1, vcc
	ds_write_b64 v0, v[0:1]
	ds_write_b64 v0, v[6:7]
.LBB10_862:                             ;   in Loop: Header=BB10_859 Depth=1
	s_or_b64 exec, exec, s[20:21]
	v_and_b32_e32 v0, 8, v56
	v_min_u32_e32 v29, v29, v12
	v_cmp_ne_u32_e32 vcc, 0, v0
	s_and_saveexec_b64 s[56:57], vcc
	s_cbranch_execz .LBB10_884
; %bb.863:                              ;   in Loop: Header=BB10_859 Depth=1
	buffer_load_dword v13, off, s[0:3], s33 offset:60 ; 4-byte Folded Reload
	buffer_load_dword v14, off, s[0:3], s33 offset:64 ; 4-byte Folded Reload
	;; [unrolled: 1-line block ×4, first 2 shown]
	v_add_co_u32_e32 v2, vcc, 8, v46
	v_addc_co_u32_e32 v3, vcc, 0, v47, vcc
	s_waitcnt vmcnt(0)
	v_add_co_u32_e32 v0, vcc, 1, v15
	v_addc_co_u32_e32 v1, vcc, 0, v16, vcc
	v_cmp_lt_u64_e32 vcc, v[2:3], v[0:1]
	s_and_saveexec_b64 s[58:59], vcc
	s_cbranch_execz .LBB10_875
; %bb.864:                              ;   in Loop: Header=BB10_859 Depth=1
	v_and_b32_e32 v2, 64, v56
	s_mov_b32 s30, 0
	v_cmp_eq_u32_e32 vcc, 0, v2
	s_mov_b64 s[60:61], 0
                                        ; implicit-def: $sgpr62_sgpr63
                                        ; implicit-def: $sgpr72_sgpr73
                                        ; implicit-def: $sgpr74_sgpr75
	s_branch .LBB10_868
.LBB10_865:                             ;   in Loop: Header=BB10_868 Depth=2
	s_waitcnt vmcnt(0) lgkmcnt(0)
	v_add_co_u32_e64 v3, s[20:21], 8, v46
	v_addc_co_u32_e64 v4, s[20:21], 0, v47, s[20:21]
	v_cmp_ge_u64_e64 s[20:21], v[3:4], v[0:1]
	s_or_b64 s[88:89], s[88:89], exec
	s_orn2_b64 s[78:79], s[20:21], exec
.LBB10_866:                             ;   in Loop: Header=BB10_868 Depth=2
	s_or_b64 exec, exec, s[92:93]
	s_andn2_b64 s[20:21], s[74:75], exec
	s_and_b64 s[74:75], s[88:89], exec
	s_or_b64 s[74:75], s[20:21], s[74:75]
	s_andn2_b64 s[20:21], s[72:73], exec
	s_and_b64 s[72:73], s[78:79], exec
	s_or_b64 s[72:73], s[20:21], s[72:73]
.LBB10_867:                             ;   in Loop: Header=BB10_868 Depth=2
	s_or_b64 exec, exec, s[76:77]
	s_and_b64 s[20:21], exec, s[72:73]
	s_or_b64 s[60:61], s[20:21], s[60:61]
	s_andn2_b64 s[20:21], s[62:63], exec
	s_and_b64 s[62:63], s[74:75], exec
	s_or_b64 s[62:63], s[20:21], s[62:63]
	s_andn2_b64 exec, exec, s[60:61]
	s_cbranch_execz .LBB10_872
.LBB10_868:                             ;   Parent Loop BB10_859 Depth=1
                                        ; =>  This Inner Loop Header: Depth=2
	s_sleep 1
	s_waitcnt vmcnt(0) lgkmcnt(0)
	flat_load_dwordx2 v[46:47], v[40:41] glc
	s_or_b64 s[74:75], s[74:75], exec
	s_or_b64 s[72:73], s[72:73], exec
                                        ; implicit-def: $vgpr2
	s_and_saveexec_b64 s[76:77], vcc
	s_cbranch_execz .LBB10_867
; %bb.869:                              ;   in Loop: Header=BB10_868 Depth=2
	s_cmpk_lt_i32 s30, 0x270f
	s_cselect_b64 s[90:91], -1, 0
	s_cmpk_gt_i32 s30, 0x270e
	s_mov_b64 s[78:79], -1
	s_cbranch_scc0 .LBB10_871
; %bb.870:                              ;   in Loop: Header=BB10_868 Depth=2
	s_trap 2
	ds_read_b64 v[2:3], v0
	s_andn2_b64 s[90:91], s[90:91], exec
	s_mov_b32 s30, 0
	s_mov_b64 s[88:89], 0
	s_waitcnt vmcnt(0) lgkmcnt(0)
	flat_load_dword v2, v[2:3] glc
	s_waitcnt vmcnt(0) lgkmcnt(0)
	buffer_wbinvl1_vol
	v_cmp_eq_u32_e64 s[20:21], 0, v2
	s_and_b64 s[20:21], s[20:21], exec
	s_or_b64 s[90:91], s[90:91], s[20:21]
	s_and_saveexec_b64 s[92:93], s[90:91]
	s_cbranch_execz .LBB10_866
	s_branch .LBB10_865
.LBB10_871:                             ;   in Loop: Header=BB10_868 Depth=2
	s_add_i32 s30, s30, 1
	s_mov_b64 s[88:89], -1
                                        ; implicit-def: $vgpr2
	s_and_saveexec_b64 s[92:93], s[90:91]
	s_cbranch_execz .LBB10_866
	s_branch .LBB10_865
.LBB10_872:                             ;   in Loop: Header=BB10_859 Depth=1
	s_or_b64 exec, exec, s[60:61]
	s_xor_b64 s[20:21], s[62:63], -1
	s_and_saveexec_b64 s[60:61], s[20:21]
	s_xor_b64 s[20:21], exec, s[60:61]
	s_cbranch_execz .LBB10_874
; %bb.873:                              ;   in Loop: Header=BB10_859 Depth=1
	v_or_b32_e32 v56, 64, v56
	s_waitcnt lgkmcnt(0)
	ds_write_b32 v0, v2
	s_trap 2
.LBB10_874:                             ;   in Loop: Header=BB10_859 Depth=1
	s_or_b64 exec, exec, s[20:21]
.LBB10_875:                             ;   in Loop: Header=BB10_859 Depth=1
	s_or_b64 exec, exec, s[58:59]
	v_and_b32_e32 v2, 0x100, v56
	;;#ASMSTART
	s_wakeup
	;;#ASMEND
	v_cmp_ne_u32_e32 vcc, 0, v2
	buffer_load_dword v2, off, s[0:3], s33 offset:60 ; 4-byte Folded Reload
	buffer_load_dword v3, off, s[0:3], s33 offset:64 ; 4-byte Folded Reload
	;; [unrolled: 1-line block ×4, first 2 shown]
	s_mov_b64 s[20:21], -1
                                        ; implicit-def: $vgpr8_vgpr9
	s_waitcnt vmcnt(0)
	v_and_b32_e32 v15, 7, v4
	s_and_saveexec_b64 s[58:59], vcc
	s_cbranch_execz .LBB10_879
; %bb.876:                              ;   in Loop: Header=BB10_859 Depth=1
	buffer_load_dword v2, off, s[0:3], s33 offset:60 ; 4-byte Folded Reload
	buffer_load_dword v3, off, s[0:3], s33 offset:64 ; 4-byte Folded Reload
	;; [unrolled: 1-line block ×4, first 2 shown]
	v_lshlrev_b32_e32 v6, 1, v29
                                        ; implicit-def: $vgpr8_vgpr9
	s_waitcnt vmcnt(0)
	v_mad_u64_u32 v[13:14], s[20:21], v15, 24, v[2:3]
	flat_load_dword v2, v[13:14]
	s_nop 0
	flat_store_dwordx2 v[13:14], v[6:7] offset:8
	s_waitcnt vmcnt(0) lgkmcnt(0)
	v_cmp_ne_u32_e32 vcc, 1, v2
	v_cmp_eq_u32_e64 s[20:21], 1, v2
	s_and_saveexec_b64 s[60:61], s[20:21]
	s_cbranch_execz .LBB10_878
; %bb.877:                              ;   in Loop: Header=BB10_859 Depth=1
	flat_load_dword v2, v[13:14] offset:4 glc
	s_waitcnt vmcnt(0) lgkmcnt(0)
	v_ashrrev_i32_e32 v3, 31, v2
	v_lshrrev_b64 v[8:9], 1, v[2:3]
.LBB10_878:                             ;   in Loop: Header=BB10_859 Depth=1
	s_or_b64 exec, exec, s[60:61]
	s_orn2_b64 s[20:21], vcc, exec
.LBB10_879:                             ;   in Loop: Header=BB10_859 Depth=1
	s_or_b64 exec, exec, s[58:59]
	s_and_saveexec_b64 s[58:59], s[20:21]
; %bb.880:                              ;   in Loop: Header=BB10_859 Depth=1
	v_mad_i64_i32 v[8:9], s[20:21], v15, v43, 0
; %bb.881:                              ;   in Loop: Header=BB10_859 Depth=1
	s_or_b64 exec, exec, s[58:59]
	buffer_load_dword v4, off, s[0:3], s33 offset:100 ; 4-byte Folded Reload
	buffer_load_dword v5, off, s[0:3], s33 offset:104 ; 4-byte Folded Reload
	v_lshlrev_b64 v[2:3], 1, v[8:9]
	s_waitcnt vmcnt(0)
	v_add_co_u32_e32 v2, vcc, v4, v2
	v_addc_co_u32_e32 v3, vcc, v5, v3, vcc
	ds_write_b64 v0, v[2:3] offset:784
	v_and_b32_e32 v2, 0x2000, v56
	v_cmp_ne_u32_e32 vcc, 0, v2
	s_and_saveexec_b64 s[20:21], vcc
	s_cbranch_execz .LBB10_883
; %bb.882:                              ;   in Loop: Header=BB10_859 Depth=1
	ds_read_b64 v[2:3], v0 offset:872
	s_waitcnt lgkmcnt(0)
	v_add_co_u32_e32 v2, vcc, 1, v2
	v_addc_co_u32_e32 v3, vcc, 0, v3, vcc
	ds_write_b64 v0, v[2:3] offset:872
.LBB10_883:                             ;   in Loop: Header=BB10_859 Depth=1
	s_or_b64 exec, exec, s[20:21]
	buffer_load_dword v2, off, s[0:3], s33 offset:60 ; 4-byte Folded Reload
	buffer_load_dword v3, off, s[0:3], s33 offset:64 ; 4-byte Folded Reload
	buffer_load_dword v4, off, s[0:3], s33 offset:68 ; 4-byte Folded Reload
	buffer_load_dword v5, off, s[0:3], s33 offset:72 ; 4-byte Folded Reload
	s_waitcnt vmcnt(0)
	v_mov_b32_e32 v5, v1
	v_mov_b32_e32 v4, v0
	buffer_store_dword v2, off, s[0:3], s33 offset:60 ; 4-byte Folded Spill
	s_nop 0
	buffer_store_dword v3, off, s[0:3], s33 offset:64 ; 4-byte Folded Spill
	buffer_store_dword v4, off, s[0:3], s33 offset:68 ; 4-byte Folded Spill
	;; [unrolled: 1-line block ×3, first 2 shown]
.LBB10_884:                             ;   in Loop: Header=BB10_859 Depth=1
	s_or_b64 exec, exec, s[56:57]
	s_and_saveexec_b64 s[20:21], s[10:11]
	s_cbranch_execz .LBB10_903
; %bb.885:                              ;   in Loop: Header=BB10_859 Depth=1
	s_and_saveexec_b64 s[56:57], s[28:29]
	s_xor_b64 s[56:57], exec, s[56:57]
	s_cbranch_execz .LBB10_900
; %bb.886:                              ;   in Loop: Header=BB10_859 Depth=1
	s_and_saveexec_b64 s[58:59], s[12:13]
	s_cbranch_execz .LBB10_899
; %bb.887:                              ;   in Loop: Header=BB10_859 Depth=1
	s_mov_b64 s[62:63], exec
	v_mbcnt_lo_u32_b32 v0, s62, 0
	v_mbcnt_hi_u32_b32 v0, s63, v0
	v_cmp_eq_u32_e32 vcc, 0, v0
	s_waitcnt vmcnt(0) lgkmcnt(0)
	buffer_wbinvl1_vol
	s_and_saveexec_b64 s[60:61], vcc
	s_cbranch_execz .LBB10_889
; %bb.888:                              ;   in Loop: Header=BB10_859 Depth=1
	s_bcnt1_i32_b64 s62, s[62:63]
	v_mov_b32_e32 v6, s62
	ds_add_u64 v0, v[6:7]
	s_trap 2
.LBB10_889:                             ;   in Loop: Header=BB10_859 Depth=1
	s_or_b64 exec, exec, s[60:61]
	s_trap 2
	ds_read_b64 v[0:1], v0
	s_waitcnt lgkmcnt(0)
	v_add_co_u32_e32 v44, vcc, v44, v57
	v_addc_co_u32_e32 v45, vcc, 0, v45, vcc
	v_cmp_lt_u64_e32 vcc, v[0:1], v[44:45]
	s_and_saveexec_b64 s[60:61], vcc
	s_cbranch_execz .LBB10_898
; %bb.890:                              ;   in Loop: Header=BB10_859 Depth=1
	s_mov_b32 s90, 0
	s_mov_b64 s[62:63], 0
                                        ; implicit-def: $sgpr72_sgpr73
                                        ; implicit-def: $sgpr74_sgpr75
	s_branch .LBB10_892
.LBB10_891:                             ;   in Loop: Header=BB10_892 Depth=2
	s_or_b64 exec, exec, s[78:79]
	s_and_b64 s[76:77], exec, s[88:89]
	s_or_b64 s[62:63], s[76:77], s[62:63]
	s_andn2_b64 s[72:73], s[72:73], exec
	s_and_b64 s[76:77], s[74:75], exec
	s_or_b64 s[72:73], s[72:73], s[76:77]
	s_andn2_b64 exec, exec, s[62:63]
	s_cbranch_execz .LBB10_896
.LBB10_892:                             ;   Parent Loop BB10_859 Depth=1
                                        ; =>  This Inner Loop Header: Depth=2
	s_add_i32 s90, s90, 1
	s_cmpk_lg_i32 s90, 0x2710
	s_cselect_b64 s[76:77], -1, 0
	s_and_b64 vcc, exec, s[76:77]
	s_cbranch_vccz .LBB10_894
; %bb.893:                              ;   in Loop: Header=BB10_892 Depth=2
	s_mov_b64 s[88:89], -1
	s_or_b64 s[74:75], s[74:75], exec
	s_and_saveexec_b64 s[78:79], s[76:77]
	s_cbranch_execz .LBB10_891
	s_branch .LBB10_895
.LBB10_894:                             ;   in Loop: Header=BB10_892 Depth=2
	s_trap 2
	ds_read_b64 v[0:1], v0
	s_andn2_b64 s[76:77], s[76:77], exec
	s_mov_b32 s90, 0
	s_waitcnt lgkmcnt(0)
	flat_load_dword v0, v[0:1] glc
	s_waitcnt vmcnt(0) lgkmcnt(0)
	buffer_wbinvl1_vol
	v_cmp_eq_u32_e32 vcc, 0, v0
	s_and_b64 s[78:79], vcc, exec
	s_or_b64 s[76:77], s[76:77], s[78:79]
	s_mov_b64 s[88:89], -1
	s_or_b64 s[74:75], s[74:75], exec
	s_and_saveexec_b64 s[78:79], s[76:77]
	s_cbranch_execz .LBB10_891
.LBB10_895:                             ;   in Loop: Header=BB10_892 Depth=2
	s_sleep 1
	s_trap 2
	ds_read_b64 v[0:1], v0
	s_waitcnt lgkmcnt(0)
	s_andn2_b64 s[74:75], s[74:75], exec
	v_cmp_ge_u64_e32 vcc, v[0:1], v[44:45]
	s_orn2_b64 s[88:89], vcc, exec
	s_branch .LBB10_891
.LBB10_896:                             ;   in Loop: Header=BB10_859 Depth=1
	s_or_b64 exec, exec, s[62:63]
	s_and_saveexec_b64 s[62:63], s[72:73]
	s_xor_b64 s[62:63], exec, s[62:63]
	s_cbranch_execz .LBB10_898
; %bb.897:                              ;   in Loop: Header=BB10_859 Depth=1
	ds_write_b32 v0, v20
	s_trap 2
.LBB10_898:                             ;   in Loop: Header=BB10_859 Depth=1
	s_or_b64 exec, exec, s[60:61]
	;;#ASMSTART
	s_wakeup
	;;#ASMEND
.LBB10_899:                             ;   in Loop: Header=BB10_859 Depth=1
	s_or_b64 exec, exec, s[58:59]
.LBB10_900:                             ;   in Loop: Header=BB10_859 Depth=1
	s_andn2_saveexec_b64 s[56:57], s[56:57]
	s_cbranch_execz .LBB10_902
; %bb.901:                              ;   in Loop: Header=BB10_859 Depth=1
	s_waitcnt vmcnt(0) lgkmcnt(0)
	buffer_wbinvl1_vol
	s_barrier
.LBB10_902:                             ;   in Loop: Header=BB10_859 Depth=1
	s_or_b64 exec, exec, s[56:57]
.LBB10_903:                             ;   in Loop: Header=BB10_859 Depth=1
	s_or_b64 exec, exec, s[20:21]
	s_trap 2
	ds_read_b32 v15, v0
	v_and_b32_e32 v0, 0x4000, v56
	v_cmp_ne_u32_e32 vcc, 0, v0
	s_and_b64 s[56:57], s[42:43], vcc
	s_and_saveexec_b64 s[20:21], s[56:57]
	s_cbranch_execz .LBB10_922
; %bb.904:                              ;   in Loop: Header=BB10_859 Depth=1
	s_and_saveexec_b64 s[56:57], s[28:29]
	s_xor_b64 s[56:57], exec, s[56:57]
	s_cbranch_execz .LBB10_919
; %bb.905:                              ;   in Loop: Header=BB10_859 Depth=1
	s_and_saveexec_b64 s[58:59], s[12:13]
	s_cbranch_execz .LBB10_918
; %bb.906:                              ;   in Loop: Header=BB10_859 Depth=1
	s_mov_b64 s[62:63], exec
	v_mbcnt_lo_u32_b32 v0, s62, 0
	v_mbcnt_hi_u32_b32 v0, s63, v0
	v_cmp_eq_u32_e32 vcc, 0, v0
	s_waitcnt vmcnt(0) lgkmcnt(0)
	buffer_wbinvl1_vol
	s_and_saveexec_b64 s[60:61], vcc
	s_cbranch_execz .LBB10_908
; %bb.907:                              ;   in Loop: Header=BB10_859 Depth=1
	s_bcnt1_i32_b64 s62, s[62:63]
	v_mov_b32_e32 v6, s62
	ds_add_u64 v0, v[6:7]
	s_trap 2
.LBB10_908:                             ;   in Loop: Header=BB10_859 Depth=1
	s_or_b64 exec, exec, s[60:61]
	s_trap 2
	ds_read_b64 v[0:1], v0
	s_waitcnt lgkmcnt(0)
	v_add_co_u32_e32 v44, vcc, v44, v57
	v_addc_co_u32_e32 v45, vcc, 0, v45, vcc
	v_cmp_lt_u64_e32 vcc, v[0:1], v[44:45]
	s_and_saveexec_b64 s[60:61], vcc
	s_cbranch_execz .LBB10_917
; %bb.909:                              ;   in Loop: Header=BB10_859 Depth=1
	s_mov_b32 s90, 0
	s_mov_b64 s[62:63], 0
                                        ; implicit-def: $sgpr72_sgpr73
                                        ; implicit-def: $sgpr74_sgpr75
	s_branch .LBB10_911
.LBB10_910:                             ;   in Loop: Header=BB10_911 Depth=2
	s_or_b64 exec, exec, s[78:79]
	s_and_b64 s[76:77], exec, s[88:89]
	s_or_b64 s[62:63], s[76:77], s[62:63]
	s_andn2_b64 s[72:73], s[72:73], exec
	s_and_b64 s[76:77], s[74:75], exec
	s_or_b64 s[72:73], s[72:73], s[76:77]
	s_andn2_b64 exec, exec, s[62:63]
	s_cbranch_execz .LBB10_915
.LBB10_911:                             ;   Parent Loop BB10_859 Depth=1
                                        ; =>  This Inner Loop Header: Depth=2
	s_add_i32 s90, s90, 1
	s_cmpk_lg_i32 s90, 0x2710
	s_cselect_b64 s[76:77], -1, 0
	s_and_b64 vcc, exec, s[76:77]
	s_cbranch_vccz .LBB10_913
; %bb.912:                              ;   in Loop: Header=BB10_911 Depth=2
	s_mov_b64 s[88:89], -1
	s_or_b64 s[74:75], s[74:75], exec
	s_and_saveexec_b64 s[78:79], s[76:77]
	s_cbranch_execz .LBB10_910
	s_branch .LBB10_914
.LBB10_913:                             ;   in Loop: Header=BB10_911 Depth=2
	s_trap 2
	ds_read_b64 v[0:1], v0
	s_andn2_b64 s[76:77], s[76:77], exec
	s_mov_b32 s90, 0
	s_waitcnt lgkmcnt(0)
	flat_load_dword v0, v[0:1] glc
	s_waitcnt vmcnt(0) lgkmcnt(0)
	buffer_wbinvl1_vol
	v_cmp_eq_u32_e32 vcc, 0, v0
	s_and_b64 s[78:79], vcc, exec
	s_or_b64 s[76:77], s[76:77], s[78:79]
	s_mov_b64 s[88:89], -1
	s_or_b64 s[74:75], s[74:75], exec
	s_and_saveexec_b64 s[78:79], s[76:77]
	s_cbranch_execz .LBB10_910
.LBB10_914:                             ;   in Loop: Header=BB10_911 Depth=2
	s_sleep 1
	s_trap 2
	ds_read_b64 v[0:1], v0
	s_waitcnt lgkmcnt(0)
	s_andn2_b64 s[74:75], s[74:75], exec
	v_cmp_ge_u64_e32 vcc, v[0:1], v[44:45]
	s_orn2_b64 s[88:89], vcc, exec
	s_branch .LBB10_910
.LBB10_915:                             ;   in Loop: Header=BB10_859 Depth=1
	s_or_b64 exec, exec, s[62:63]
	s_and_saveexec_b64 s[62:63], s[72:73]
	s_xor_b64 s[62:63], exec, s[62:63]
	s_cbranch_execz .LBB10_917
; %bb.916:                              ;   in Loop: Header=BB10_859 Depth=1
	ds_write_b32 v0, v20
	s_trap 2
.LBB10_917:                             ;   in Loop: Header=BB10_859 Depth=1
	s_or_b64 exec, exec, s[60:61]
	;;#ASMSTART
	s_wakeup
	;;#ASMEND
.LBB10_918:                             ;   in Loop: Header=BB10_859 Depth=1
	s_or_b64 exec, exec, s[58:59]
.LBB10_919:                             ;   in Loop: Header=BB10_859 Depth=1
	s_andn2_saveexec_b64 s[56:57], s[56:57]
	s_cbranch_execz .LBB10_921
; %bb.920:                              ;   in Loop: Header=BB10_859 Depth=1
	s_waitcnt vmcnt(0) lgkmcnt(0)
	buffer_wbinvl1_vol
	s_barrier
.LBB10_921:                             ;   in Loop: Header=BB10_859 Depth=1
	s_or_b64 exec, exec, s[56:57]
.LBB10_922:                             ;   in Loop: Header=BB10_859 Depth=1
	s_or_b64 exec, exec, s[20:21]
	s_trap 2
	ds_read_b64 v[0:1], v0
	s_waitcnt lgkmcnt(0)
	v_cmp_eq_u64_e32 vcc, 0, v[0:1]
	s_cbranch_vccnz .LBB10_930
; %bb.923:                              ;   in Loop: Header=BB10_859 Depth=1
	s_trap 2
	ds_read_b64 v[13:14], v0
	s_waitcnt lgkmcnt(0)
	v_cmp_eq_u64_e32 vcc, 0, v[13:14]
	s_cbranch_vccnz .LBB10_930
; %bb.924:                              ;   in Loop: Header=BB10_859 Depth=1
	s_mov_b64 s[20:21], -1
	s_and_saveexec_b64 s[56:57], s[14:15]
	s_cbranch_execz .LBB10_926
; %bb.925:                              ;   in Loop: Header=BB10_859 Depth=1
	ds_read_b32 v2, v0 offset:720
	s_waitcnt lgkmcnt(0)
	v_and_b32_e32 v2, 15, v2
	v_cmp_eq_u32_e32 vcc, 0, v2
	s_orn2_b64 s[20:21], vcc, exec
.LBB10_926:                             ;   in Loop: Header=BB10_859 Depth=1
	s_or_b64 exec, exec, s[56:57]
	s_and_saveexec_b64 s[56:57], s[16:17]
	s_cbranch_execz .LBB10_928
; %bb.927:                              ;   in Loop: Header=BB10_859 Depth=1
	ds_read_b32 v2, v0 offset:784
	s_waitcnt lgkmcnt(0)
	v_and_b32_e32 v2, 15, v2
	v_cmp_eq_u32_e32 vcc, 0, v2
	s_and_b64 s[58:59], s[20:21], vcc
	s_andn2_b64 s[20:21], s[20:21], exec
	s_and_b64 s[58:59], s[58:59], exec
	s_or_b64 s[20:21], s[20:21], s[58:59]
.LBB10_928:                             ;   in Loop: Header=BB10_859 Depth=1
	s_or_b64 exec, exec, s[56:57]
	v_cmp_eq_u32_e32 vcc, 0, v15
	s_xor_b64 s[20:21], s[20:21], -1
	v_cndmask_b32_e32 v2, 0, v29, vcc
	v_cndmask_b32_e64 v3, 0, 1, s[20:21]
	v_lshlrev_b32_e32 v30, 1, v2
	s_mov_b64 s[58:59], -1
	v_cmp_ne_u32_e32 vcc, 0, v3
	v_mov_b32_e32 v31, 0
	s_cbranch_vccz .LBB10_931
; %bb.929:                              ;   in Loop: Header=BB10_859 Depth=1
	v_mov_b32_e32 v32, v42
	v_mov_b32_e32 v36, v55
	s_and_saveexec_b64 s[20:21], s[58:59]
	s_cbranch_execnz .LBB10_944
	s_branch .LBB10_952
.LBB10_930:                             ;   in Loop: Header=BB10_859 Depth=1
	s_mov_b64 s[20:21], 0
	s_and_saveexec_b64 s[56:57], s[10:11]
	s_cbranch_execnz .LBB10_953
	s_branch .LBB10_971
.LBB10_931:                             ;   in Loop: Header=BB10_859 Depth=1
	v_lshrrev_b32_e32 v31, 12, v2
	v_sub_u32_e32 v33, v31, v55
	v_cmp_lt_i32_e32 vcc, 0, v33
	s_and_saveexec_b64 s[56:57], vcc
	s_cbranch_execz .LBB10_935
; %bb.932:                              ;   in Loop: Header=BB10_859 Depth=1
	v_mov_b32_e32 v16, v14
	v_mov_b32_e32 v18, v1
	;; [unrolled: 1-line block ×3, first 2 shown]
	s_mov_b64 s[58:59], 0
	v_mov_b32_e32 v15, v13
	v_mov_b32_e32 v17, v0
	buffer_store_dword v44, off, s[0:3], s33 offset:128 ; 4-byte Folded Spill
	s_nop 0
	buffer_store_dword v45, off, s[0:3], s33 offset:132 ; 4-byte Folded Spill
.LBB10_933:                             ;   Parent Loop BB10_859 Depth=1
                                        ; =>  This Inner Loop Header: Depth=2
	v_add_co_u32_e32 v3, vcc, v38, v17
	v_addc_co_u32_e32 v4, vcc, v27, v18, vcc
	v_add_co_u32_e32 v8, vcc, s95, v3
	v_addc_co_u32_e32 v9, vcc, 0, v4, vcc
	global_load_dwordx4 v[34:37], v[3:4], off glc slc
	global_load_dwordx4 v[48:51], v[3:4], off offset:1024 glc slc
	global_load_dwordx4 v[52:55], v[3:4], off offset:2048 glc slc
	;; [unrolled: 1-line block ×3, first 2 shown]
	global_load_dwordx4 v[23:26], v[8:9], off glc slc
	global_load_dwordx4 v[42:45], v[8:9], off offset:1024 glc slc
	s_nop 0
	global_load_dwordx4 v[3:6], v[8:9], off offset:2048 glc slc
	global_load_dwordx4 v[19:22], v[8:9], off offset:3072 glc slc
	v_add_co_u32_e32 v8, vcc, v38, v15
	v_addc_co_u32_e32 v9, vcc, v27, v16, vcc
	v_add_co_u32_e32 v17, vcc, v17, v28
	v_addc_co_u32_e32 v18, vcc, 0, v18, vcc
	;; [unrolled: 2-line block ×3, first 2 shown]
	v_sub_u32_e32 v33, v33, v57
	v_add_co_u32_e32 v27, vcc, s95, v8
	v_cmp_gt_i32_e64 s[20:21], 1, v33
	v_addc_co_u32_e32 v28, vcc, 0, v9, vcc
	s_or_b64 s[58:59], s[20:21], s[58:59]
	s_waitcnt vmcnt(7)
	global_store_dwordx4 v[8:9], v[34:37], off glc slc
	s_waitcnt vmcnt(7)
	global_store_dwordx4 v[8:9], v[48:51], off offset:1024 glc slc
	s_waitcnt vmcnt(7)
	global_store_dwordx4 v[8:9], v[52:55], off offset:2048 glc slc
	;; [unrolled: 2-line block ×3, first 2 shown]
	s_waitcnt vmcnt(7)
	global_store_dwordx4 v[27:28], v[23:26], off glc slc
	s_waitcnt vmcnt(7)
	global_store_dwordx4 v[27:28], v[42:45], off offset:1024 glc slc
	s_waitcnt vmcnt(7)
	global_store_dwordx4 v[27:28], v[3:6], off offset:2048 glc slc
	;; [unrolled: 2-line block ×3, first 2 shown]
	v_lshlrev_b32_e32 v28, 13, v57
	v_ashrrev_i32_e32 v27, 31, v38
	s_andn2_b64 exec, exec, s[58:59]
	s_cbranch_execnz .LBB10_933
; %bb.934:                              ;   in Loop: Header=BB10_859 Depth=1
	s_or_b64 exec, exec, s[58:59]
	buffer_load_dword v42, off, s[0:3], s33 offset:136 ; 4-byte Folded Reload
	buffer_load_dword v50, off, s[0:3], s33 offset:76 ; 4-byte Folded Reload
	;; [unrolled: 1-line block ×15, first 2 shown]
	v_mov_b32_e32 v54, v32
	v_lshlrev_b32_e32 v19, 10, v57
	v_mov_b32_e32 v20, 1
.LBB10_935:                             ;   in Loop: Header=BB10_859 Depth=1
	s_or_b64 exec, exec, s[56:57]
	v_lshlrev_b32_e32 v15, 13, v31
	v_cmp_ne_u32_e32 vcc, v30, v15
	s_mov_b64 s[58:59], 0
	v_mov_b32_e32 v31, 0
                                        ; implicit-def: $vgpr32
                                        ; implicit-def: $vgpr36
	s_and_saveexec_b64 s[56:57], vcc
	s_cbranch_execz .LBB10_943
; %bb.936:                              ;   in Loop: Header=BB10_859 Depth=1
	buffer_load_dword v5, off, s[0:3], s33 offset:144 ; 4-byte Folded Reload
	v_lshlrev_b32_e32 v4, 6, v33
	v_sub_u32_e32 v3, v30, v15
	s_waitcnt vmcnt(0)
	v_sub_u32_e32 v4, v5, v4
	v_ashrrev_i32_e32 v5, 31, v4
	v_lshrrev_b32_e32 v5, 26, v5
	v_add_u32_e32 v5, v4, v5
	v_ashrrev_i32_e32 v6, 6, v5
	v_and_b32_e32 v5, 0xffffffc0, v5
	v_sub_u32_e32 v16, v4, v5
	v_lshlrev_b32_e32 v4, 4, v16
	v_lshl_add_u32 v32, v6, 10, v4
	v_ashrrev_i32_e32 v4, 31, v3
	v_lshrrev_b32_e32 v4, 22, v4
	v_add_u32_e32 v4, v3, v4
	v_and_b32_e32 v17, 0xfffffc00, v4
	v_sub_u32_e32 v33, v3, v17
	v_ashrrev_i32_e32 v5, 10, v4
	v_cmp_lt_i32_e32 vcc, 15, v33
	v_sub_u32_e32 v31, v3, v32
	v_addc_co_u32_e64 v3, s[20:21], 0, v5, vcc
	v_sub_u32_e32 v18, v3, v6
	v_cmp_lt_i32_e64 s[20:21], 15, v31
	s_and_saveexec_b64 s[58:59], s[20:21]
	s_cbranch_execz .LBB10_940
; %bb.937:                              ;   in Loop: Header=BB10_859 Depth=1
	v_add_u32_e32 v32, v32, v15
	v_ashrrev_i32_e32 v34, 31, v32
	s_mov_b64 s[60:61], 0
.LBB10_938:                             ;   Parent Loop BB10_859 Depth=1
                                        ; =>  This Inner Loop Header: Depth=2
	v_add_co_u32_e64 v3, s[20:21], v0, v32
	v_addc_co_u32_e64 v4, s[20:21], v1, v34, s[20:21]
	global_load_dwordx4 v[3:6], v[3:4], off glc slc
	v_add_co_u32_e64 v8, s[20:21], v13, v32
	v_addc_co_u32_e64 v9, s[20:21], v14, v34, s[20:21]
	v_add_co_u32_e64 v32, s[20:21], v32, v19
	v_sub_u32_e32 v31, v31, v19
	v_addc_co_u32_e64 v34, s[20:21], 0, v34, s[20:21]
	v_cmp_gt_i32_e64 s[20:21], 16, v31
	v_sub_u32_e32 v18, v18, v57
	s_or_b64 s[60:61], s[20:21], s[60:61]
	s_waitcnt vmcnt(0)
	global_store_dwordx4 v[8:9], v[3:6], off glc slc
	s_andn2_b64 exec, exec, s[60:61]
	s_cbranch_execnz .LBB10_938
; %bb.939:                              ;   in Loop: Header=BB10_859 Depth=1
	s_or_b64 exec, exec, s[60:61]
.LBB10_940:                             ;   in Loop: Header=BB10_859 Depth=1
	s_or_b64 exec, exec, s[58:59]
	v_and_b32_e32 v34, 14, v30
	v_cndmask_b32_e32 v30, v33, v34, vcc
	v_mov_b32_e32 v31, 0
	v_cmp_ne_u32_e64 s[20:21], 0, v30
	s_mov_b64 s[58:59], 0
                                        ; implicit-def: $vgpr32
                                        ; implicit-def: $vgpr36
	s_and_saveexec_b64 s[60:61], s[20:21]
	s_cbranch_execz .LBB10_942
; %bb.941:                              ;   in Loop: Header=BB10_859 Depth=1
	v_sub_u32_e32 v3, v33, v34
	v_cndmask_b32_e32 v3, 0, v3, vcc
	v_cmp_lt_i32_e32 vcc, 0, v18
	v_add3_u32 v31, v17, v15, v3
	v_cndmask_b32_e32 v3, 0, v57, vcc
	v_sub_u32_e32 v3, v3, v18
	v_lshl_add_u32 v32, v3, 6, v16
	v_ashrrev_i32_e32 v3, 31, v32
	v_lshrrev_b32_e32 v3, 26, v3
	v_add_u32_e32 v3, v32, v3
	s_mov_b64 s[58:59], exec
	v_ashrrev_i32_e32 v36, 6, v3
.LBB10_942:                             ;   in Loop: Header=BB10_859 Depth=1
	s_or_b64 exec, exec, s[60:61]
	s_and_b64 s[58:59], s[58:59], exec
.LBB10_943:                             ;   in Loop: Header=BB10_859 Depth=1
	s_or_b64 exec, exec, s[56:57]
	s_and_saveexec_b64 s[20:21], s[58:59]
	s_cbranch_execz .LBB10_952
.LBB10_944:                             ;   in Loop: Header=BB10_859 Depth=1
	v_ashrrev_i32_e32 v3, 31, v30
	v_lshrrev_b32_e32 v3, 21, v3
	v_add_u32_e32 v3, v30, v3
	v_ashrrev_i32_e32 v35, 11, v3
	v_sub_u32_e32 v33, v35, v36
	v_ashrrev_i32_e32 v3, 31, v32
	v_cmp_lt_i32_e32 vcc, 0, v33
	v_lshrrev_b32_e32 v34, 26, v3
	s_and_saveexec_b64 s[56:57], vcc
	s_cbranch_execz .LBB10_948
; %bb.945:                              ;   in Loop: Header=BB10_859 Depth=1
	v_add_u32_e32 v3, v32, v34
	v_and_b32_e32 v3, 0x7fffffc0, v3
	v_sub_u32_e32 v3, v32, v3
	v_lshlrev_b32_e32 v3, 1, v3
	v_lshlrev_b32_e32 v4, 11, v36
	v_add3_u32 v36, v3, v31, v4
	v_mov_b32_e32 v16, v14
	v_mov_b32_e32 v18, v1
	v_ashrrev_i32_e32 v37, 31, v36
	s_mov_b64 s[58:59], 0
	v_mov_b32_e32 v15, v13
	v_mov_b32_e32 v17, v0
.LBB10_946:                             ;   Parent Loop BB10_859 Depth=1
                                        ; =>  This Inner Loop Header: Depth=2
	v_add_co_u32_e32 v3, vcc, v36, v17
	v_addc_co_u32_e32 v4, vcc, v37, v18, vcc
	flat_load_ushort v5, v[3:4] glc slc
	flat_load_ushort v6, v[3:4] offset:128 glc slc
	flat_load_ushort v8, v[3:4] offset:256 glc slc
	;; [unrolled: 1-line block ×15, first 2 shown]
	v_add_co_u32_e32 v3, vcc, v36, v15
	v_addc_co_u32_e32 v4, vcc, v37, v16, vcc
	v_add_co_u32_e32 v17, vcc, v17, v62
	v_addc_co_u32_e32 v18, vcc, 0, v18, vcc
	v_add_co_u32_e32 v15, vcc, v15, v62
	v_sub_u32_e32 v33, v33, v57
	v_addc_co_u32_e32 v16, vcc, 0, v16, vcc
	v_cmp_gt_i32_e32 vcc, 1, v33
	s_or_b64 s[58:59], vcc, s[58:59]
	s_waitcnt vmcnt(0) lgkmcnt(0)
	flat_store_short v[3:4], v5 glc slc
	flat_store_short v[3:4], v6 offset:128 glc slc
	flat_store_short v[3:4], v8 offset:256 glc slc
	;; [unrolled: 1-line block ×15, first 2 shown]
	s_andn2_b64 exec, exec, s[58:59]
	s_cbranch_execnz .LBB10_946
; %bb.947:                              ;   in Loop: Header=BB10_859 Depth=1
	s_or_b64 exec, exec, s[58:59]
	v_ashrrev_i32_e32 v27, 31, v38
	v_lshlrev_b32_e32 v28, 13, v57
	v_lshlrev_b32_e32 v19, 10, v57
	v_mov_b32_e32 v20, 1
.LBB10_948:                             ;   in Loop: Header=BB10_859 Depth=1
	s_or_b64 exec, exec, s[56:57]
	v_lshlrev_b32_e32 v15, 11, v35
	v_cmp_ne_u32_e32 vcc, v30, v15
	s_and_b64 exec, exec, vcc
	s_cbranch_execz .LBB10_952
; %bb.949:                              ;   in Loop: Header=BB10_859 Depth=1
	v_add_u32_e32 v3, v32, v34
	v_and_b32_e32 v3, 0xffffffc0, v3
	v_sub_u32_e32 v3, v32, v3
	v_lshlrev_b32_e32 v4, 6, v33
	v_sub_u32_e32 v3, v3, v4
	v_ashrrev_i32_e32 v4, 31, v3
	v_lshrrev_b32_e32 v4, 26, v4
	v_add_u32_e32 v4, v3, v4
	v_and_b32_e32 v5, 0x7fffffc0, v4
	v_sub_u32_e32 v3, v3, v5
	v_lshlrev_b32_e32 v4, 1, v4
	v_and_b32_e32 v4, 0xffffff80, v4
	v_lshlrev_b32_e32 v3, 1, v3
	v_add3_u32 v16, v4, v3, v15
	v_sub_u32_e32 v15, v30, v16
	v_cmp_lt_i32_e32 vcc, 1, v15
	s_and_b64 exec, exec, vcc
	s_cbranch_execz .LBB10_952
; %bb.950:                              ;   in Loop: Header=BB10_859 Depth=1
	v_add_u32_e32 v16, v16, v31
	v_ashrrev_i32_e32 v17, 31, v16
	s_mov_b64 s[56:57], 0
.LBB10_951:                             ;   Parent Loop BB10_859 Depth=1
                                        ; =>  This Inner Loop Header: Depth=2
	v_add_co_u32_e32 v3, vcc, v0, v16
	v_addc_co_u32_e32 v4, vcc, v1, v17, vcc
	flat_load_ushort v5, v[3:4] glc slc
	v_add_co_u32_e32 v3, vcc, v13, v16
	v_addc_co_u32_e32 v4, vcc, v14, v17, vcc
	v_add_co_u32_e32 v16, vcc, v16, v39
	v_sub_u32_e32 v15, v15, v39
	v_addc_co_u32_e32 v17, vcc, 0, v17, vcc
	v_cmp_gt_i32_e32 vcc, 2, v15
	s_or_b64 s[56:57], vcc, s[56:57]
	s_waitcnt vmcnt(0) lgkmcnt(0)
	flat_store_short v[3:4], v5 glc slc
	s_andn2_b64 exec, exec, s[56:57]
	s_cbranch_execnz .LBB10_951
.LBB10_952:                             ;   in Loop: Header=BB10_859 Depth=1
	s_or_b64 exec, exec, s[20:21]
	v_cmp_ne_u32_e64 s[20:21], 0, v2
	s_and_saveexec_b64 s[56:57], s[10:11]
	s_cbranch_execz .LBB10_971
.LBB10_953:                             ;   in Loop: Header=BB10_859 Depth=1
	s_and_saveexec_b64 s[58:59], s[28:29]
	s_xor_b64 s[58:59], exec, s[58:59]
	s_cbranch_execz .LBB10_968
; %bb.954:                              ;   in Loop: Header=BB10_859 Depth=1
	s_and_saveexec_b64 s[60:61], s[12:13]
	s_cbranch_execz .LBB10_967
; %bb.955:                              ;   in Loop: Header=BB10_859 Depth=1
	s_mov_b64 s[72:73], exec
	v_mbcnt_lo_u32_b32 v0, s72, 0
	v_mbcnt_hi_u32_b32 v0, s73, v0
	v_cmp_eq_u32_e32 vcc, 0, v0
	s_waitcnt vmcnt(0) lgkmcnt(0)
	buffer_wbinvl1_vol
	s_and_saveexec_b64 s[62:63], vcc
	s_cbranch_execz .LBB10_957
; %bb.956:                              ;   in Loop: Header=BB10_859 Depth=1
	s_bcnt1_i32_b64 s72, s[72:73]
	v_mov_b32_e32 v6, s72
	ds_add_u64 v0, v[6:7]
	s_trap 2
.LBB10_957:                             ;   in Loop: Header=BB10_859 Depth=1
	s_or_b64 exec, exec, s[62:63]
	s_trap 2
	ds_read_b64 v[0:1], v0
	s_waitcnt lgkmcnt(0)
	v_add_co_u32_e32 v44, vcc, v44, v57
	v_addc_co_u32_e32 v45, vcc, 0, v45, vcc
	v_cmp_lt_u64_e32 vcc, v[0:1], v[44:45]
	s_and_saveexec_b64 s[62:63], vcc
	s_cbranch_execz .LBB10_966
; %bb.958:                              ;   in Loop: Header=BB10_859 Depth=1
	s_mov_b32 s92, 0
	s_mov_b64 s[72:73], 0
                                        ; implicit-def: $sgpr74_sgpr75
                                        ; implicit-def: $sgpr76_sgpr77
	s_branch .LBB10_960
.LBB10_959:                             ;   in Loop: Header=BB10_960 Depth=2
	s_or_b64 exec, exec, s[88:89]
	s_and_b64 s[78:79], exec, s[90:91]
	s_or_b64 s[72:73], s[78:79], s[72:73]
	s_andn2_b64 s[74:75], s[74:75], exec
	s_and_b64 s[78:79], s[76:77], exec
	s_or_b64 s[74:75], s[74:75], s[78:79]
	s_andn2_b64 exec, exec, s[72:73]
	s_cbranch_execz .LBB10_964
.LBB10_960:                             ;   Parent Loop BB10_859 Depth=1
                                        ; =>  This Inner Loop Header: Depth=2
	s_add_i32 s92, s92, 1
	s_cmpk_lg_i32 s92, 0x2710
	s_cselect_b64 s[78:79], -1, 0
	s_and_b64 vcc, exec, s[78:79]
	s_cbranch_vccz .LBB10_962
; %bb.961:                              ;   in Loop: Header=BB10_960 Depth=2
	s_mov_b64 s[90:91], -1
	s_or_b64 s[76:77], s[76:77], exec
	s_and_saveexec_b64 s[88:89], s[78:79]
	s_cbranch_execz .LBB10_959
	s_branch .LBB10_963
.LBB10_962:                             ;   in Loop: Header=BB10_960 Depth=2
	s_trap 2
	ds_read_b64 v[0:1], v0
	s_andn2_b64 s[78:79], s[78:79], exec
	s_mov_b32 s92, 0
	s_waitcnt lgkmcnt(0)
	flat_load_dword v0, v[0:1] glc
	s_waitcnt vmcnt(0) lgkmcnt(0)
	buffer_wbinvl1_vol
	v_cmp_eq_u32_e32 vcc, 0, v0
	s_and_b64 s[88:89], vcc, exec
	s_or_b64 s[78:79], s[78:79], s[88:89]
	s_mov_b64 s[90:91], -1
	s_or_b64 s[76:77], s[76:77], exec
	s_and_saveexec_b64 s[88:89], s[78:79]
	s_cbranch_execz .LBB10_959
.LBB10_963:                             ;   in Loop: Header=BB10_960 Depth=2
	s_sleep 1
	s_trap 2
	ds_read_b64 v[0:1], v0
	s_waitcnt lgkmcnt(0)
	s_andn2_b64 s[76:77], s[76:77], exec
	v_cmp_ge_u64_e32 vcc, v[0:1], v[44:45]
	s_orn2_b64 s[90:91], vcc, exec
	s_branch .LBB10_959
.LBB10_964:                             ;   in Loop: Header=BB10_859 Depth=1
	s_or_b64 exec, exec, s[72:73]
	s_and_saveexec_b64 s[72:73], s[74:75]
	s_xor_b64 s[72:73], exec, s[72:73]
	s_cbranch_execz .LBB10_966
; %bb.965:                              ;   in Loop: Header=BB10_859 Depth=1
	ds_write_b32 v0, v20
	s_trap 2
.LBB10_966:                             ;   in Loop: Header=BB10_859 Depth=1
	s_or_b64 exec, exec, s[62:63]
	;;#ASMSTART
	s_wakeup
	;;#ASMEND
.LBB10_967:                             ;   in Loop: Header=BB10_859 Depth=1
	s_or_b64 exec, exec, s[60:61]
.LBB10_968:                             ;   in Loop: Header=BB10_859 Depth=1
	s_andn2_saveexec_b64 s[58:59], s[58:59]
	s_cbranch_execz .LBB10_970
; %bb.969:                              ;   in Loop: Header=BB10_859 Depth=1
	s_waitcnt vmcnt(0) lgkmcnt(0)
	buffer_wbinvl1_vol
	s_barrier
.LBB10_970:                             ;   in Loop: Header=BB10_859 Depth=1
	s_or_b64 exec, exec, s[58:59]
.LBB10_971:                             ;   in Loop: Header=BB10_859 Depth=1
	s_or_b64 exec, exec, s[56:57]
	v_and_b32_e32 v0, 16, v56
	v_cmp_ne_u32_e32 vcc, 0, v0
	s_and_b64 s[56:57], vcc, s[20:21]
	s_and_saveexec_b64 s[20:21], s[56:57]
	s_cbranch_execz .LBB10_973
; %bb.972:                              ;   in Loop: Header=BB10_859 Depth=1
	s_waitcnt vmcnt(0) lgkmcnt(0)
	buffer_wbinvl1_vol
.LBB10_973:                             ;   in Loop: Header=BB10_859 Depth=1
	s_or_b64 exec, exec, s[20:21]
	v_cmp_ne_u32_e32 vcc, 0, v0
	s_and_saveexec_b64 s[20:21], vcc
	s_cbranch_execz .LBB10_977
; %bb.974:                              ;   in Loop: Header=BB10_859 Depth=1
	s_and_saveexec_b64 s[56:57], s[18:19]
	s_cbranch_execz .LBB10_976
; %bb.975:                              ;   in Loop: Header=BB10_859 Depth=1
	buffer_load_dword v0, off, s[0:3], s33 offset:108 ; 4-byte Folded Reload
	buffer_load_dword v1, off, s[0:3], s33 offset:112 ; 4-byte Folded Reload
	s_waitcnt vmcnt(0)
	flat_store_dword v[0:1], v20
.LBB10_976:                             ;   in Loop: Header=BB10_859 Depth=1
	s_or_b64 exec, exec, s[56:57]
	buffer_load_dword v0, off, s[0:3], s33 offset:60 ; 4-byte Folded Reload
	buffer_load_dword v1, off, s[0:3], s33 offset:64 ; 4-byte Folded Reload
	;; [unrolled: 1-line block ×4, first 2 shown]
	s_waitcnt vmcnt(0)
	v_add_co_u32_e32 v2, vcc, 1, v2
	v_addc_co_u32_e32 v3, vcc, 0, v3, vcc
	buffer_store_dword v0, off, s[0:3], s33 offset:60 ; 4-byte Folded Spill
	s_nop 0
	buffer_store_dword v1, off, s[0:3], s33 offset:64 ; 4-byte Folded Spill
	buffer_store_dword v2, off, s[0:3], s33 offset:68 ; 4-byte Folded Spill
	;; [unrolled: 1-line block ×3, first 2 shown]
	flat_store_dwordx2 v[40:41], v[2:3]
.LBB10_977:                             ;   in Loop: Header=BB10_859 Depth=1
	s_or_b64 exec, exec, s[20:21]
	v_mov_b32_e32 v0, v29
.LBB10_978:                             ;   in Loop: Header=BB10_859 Depth=1
	s_or_b64 exec, exec, s[46:47]
	s_and_saveexec_b64 s[46:47], s[44:45]
	s_cbranch_execz .LBB10_858
; %bb.979:                              ;   in Loop: Header=BB10_859 Depth=1
	v_sub_u32_e32 v0, v12, v0
	v_min_i32_e32 v0, v29, v0
	v_and_b32_e32 v1, 8, v56
	v_cmp_ne_u32_e32 vcc, 0, v1
	s_mov_b64 s[44:45], exec
	buffer_load_dword v15, off, s[0:3], s33 offset:60 ; 4-byte Folded Reload
	buffer_load_dword v16, off, s[0:3], s33 offset:64 ; 4-byte Folded Reload
	;; [unrolled: 1-line block ×4, first 2 shown]
	s_and_b64 s[20:21], s[44:45], vcc
	s_mov_b64 exec, s[20:21]
	s_cbranch_execz .LBB10_1001
; %bb.980:                              ;   in Loop: Header=BB10_859 Depth=1
	v_add_co_u32_e32 v1, vcc, 8, v46
	v_addc_co_u32_e32 v2, vcc, 0, v47, vcc
	s_waitcnt vmcnt(0)
	v_add_co_u32_e32 v12, vcc, 1, v17
	v_addc_co_u32_e32 v13, vcc, 0, v18, vcc
	v_cmp_lt_u64_e32 vcc, v[1:2], v[12:13]
	s_and_saveexec_b64 s[56:57], vcc
	s_cbranch_execz .LBB10_992
; %bb.981:                              ;   in Loop: Header=BB10_859 Depth=1
	v_and_b32_e32 v1, 64, v56
	s_mov_b32 s92, 0
	v_cmp_eq_u32_e32 vcc, 0, v1
	s_mov_b64 s[58:59], 0
                                        ; implicit-def: $sgpr60_sgpr61
                                        ; implicit-def: $sgpr62_sgpr63
                                        ; implicit-def: $sgpr72_sgpr73
	s_branch .LBB10_985
.LBB10_982:                             ;   in Loop: Header=BB10_985 Depth=2
	s_waitcnt vmcnt(0) lgkmcnt(0)
	v_add_co_u32_e64 v2, s[20:21], 8, v46
	v_addc_co_u32_e64 v3, s[20:21], 0, v47, s[20:21]
	v_cmp_ge_u64_e64 s[20:21], v[2:3], v[12:13]
	s_or_b64 s[78:79], s[78:79], exec
	s_orn2_b64 s[76:77], s[20:21], exec
.LBB10_983:                             ;   in Loop: Header=BB10_985 Depth=2
	s_or_b64 exec, exec, s[90:91]
	s_andn2_b64 s[20:21], s[72:73], exec
	s_and_b64 s[72:73], s[78:79], exec
	s_or_b64 s[72:73], s[20:21], s[72:73]
	s_andn2_b64 s[20:21], s[62:63], exec
	s_and_b64 s[62:63], s[76:77], exec
	s_or_b64 s[62:63], s[20:21], s[62:63]
.LBB10_984:                             ;   in Loop: Header=BB10_985 Depth=2
	s_or_b64 exec, exec, s[74:75]
	s_and_b64 s[20:21], exec, s[62:63]
	s_or_b64 s[58:59], s[20:21], s[58:59]
	s_andn2_b64 s[20:21], s[60:61], exec
	s_and_b64 s[60:61], s[72:73], exec
	s_or_b64 s[60:61], s[20:21], s[60:61]
	s_andn2_b64 exec, exec, s[58:59]
	s_cbranch_execz .LBB10_989
.LBB10_985:                             ;   Parent Loop BB10_859 Depth=1
                                        ; =>  This Inner Loop Header: Depth=2
	s_sleep 1
	s_waitcnt vmcnt(0) lgkmcnt(0)
	flat_load_dwordx2 v[46:47], v[40:41] glc
	s_or_b64 s[72:73], s[72:73], exec
	s_or_b64 s[62:63], s[62:63], exec
                                        ; implicit-def: $vgpr1
	s_and_saveexec_b64 s[74:75], vcc
	s_cbranch_execz .LBB10_984
; %bb.986:                              ;   in Loop: Header=BB10_985 Depth=2
	s_cmpk_lt_i32 s92, 0x270f
	s_cselect_b64 s[88:89], -1, 0
	s_cmpk_gt_i32 s92, 0x270e
	s_mov_b64 s[76:77], -1
	s_cbranch_scc0 .LBB10_988
; %bb.987:                              ;   in Loop: Header=BB10_985 Depth=2
	s_trap 2
	ds_read_b64 v[1:2], v0
	s_andn2_b64 s[88:89], s[88:89], exec
	s_mov_b32 s92, 0
	s_mov_b64 s[78:79], 0
	s_waitcnt vmcnt(0) lgkmcnt(0)
	flat_load_dword v1, v[1:2] glc
	s_waitcnt vmcnt(0) lgkmcnt(0)
	buffer_wbinvl1_vol
	v_cmp_eq_u32_e64 s[20:21], 0, v1
	s_and_b64 s[20:21], s[20:21], exec
	s_or_b64 s[88:89], s[88:89], s[20:21]
	s_and_saveexec_b64 s[90:91], s[88:89]
	s_cbranch_execz .LBB10_983
	s_branch .LBB10_982
.LBB10_988:                             ;   in Loop: Header=BB10_985 Depth=2
	s_add_i32 s92, s92, 1
	s_mov_b64 s[78:79], -1
                                        ; implicit-def: $vgpr1
	s_and_saveexec_b64 s[90:91], s[88:89]
	s_cbranch_execz .LBB10_983
	s_branch .LBB10_982
.LBB10_989:                             ;   in Loop: Header=BB10_859 Depth=1
	s_or_b64 exec, exec, s[58:59]
	s_xor_b64 s[20:21], s[60:61], -1
	s_and_saveexec_b64 s[58:59], s[20:21]
	s_xor_b64 s[20:21], exec, s[58:59]
	s_cbranch_execz .LBB10_991
; %bb.990:                              ;   in Loop: Header=BB10_859 Depth=1
	v_or_b32_e32 v56, 64, v56
	s_waitcnt lgkmcnt(0)
	ds_write_b32 v0, v1
	s_trap 2
.LBB10_991:                             ;   in Loop: Header=BB10_859 Depth=1
	s_or_b64 exec, exec, s[20:21]
.LBB10_992:                             ;   in Loop: Header=BB10_859 Depth=1
	s_or_b64 exec, exec, s[56:57]
	v_and_b32_e32 v1, 0x100, v56
	v_cmp_ne_u32_e32 vcc, 0, v1
	v_and_b32_e32 v14, 7, v17
	s_mov_b64 s[20:21], -1
	;;#ASMSTART
	s_wakeup
	;;#ASMEND
                                        ; implicit-def: $vgpr1_vgpr2
	s_and_saveexec_b64 s[56:57], vcc
	s_cbranch_execz .LBB10_996
; %bb.993:                              ;   in Loop: Header=BB10_859 Depth=1
	v_mad_u64_u32 v[8:9], s[20:21], v14, 24, v[15:16]
	v_ashrrev_i32_e32 v1, 31, v0
	v_lshlrev_b64 v[1:2], 1, v[0:1]
	flat_load_dword v3, v[8:9]
	s_waitcnt vmcnt(0) lgkmcnt(0)
	v_cmp_ne_u32_e32 vcc, 1, v3
	v_cmp_eq_u32_e64 s[20:21], 1, v3
	flat_store_dwordx2 v[8:9], v[1:2] offset:8
                                        ; implicit-def: $vgpr1_vgpr2
	s_and_saveexec_b64 s[58:59], s[20:21]
	s_cbranch_execz .LBB10_995
; %bb.994:                              ;   in Loop: Header=BB10_859 Depth=1
	flat_load_dword v1, v[8:9] offset:4 glc
	s_waitcnt vmcnt(0) lgkmcnt(0)
	v_ashrrev_i32_e32 v2, 31, v1
	v_lshrrev_b64 v[1:2], 1, v[1:2]
.LBB10_995:                             ;   in Loop: Header=BB10_859 Depth=1
	s_or_b64 exec, exec, s[58:59]
	s_orn2_b64 s[20:21], vcc, exec
.LBB10_996:                             ;   in Loop: Header=BB10_859 Depth=1
	s_or_b64 exec, exec, s[56:57]
	s_and_saveexec_b64 s[56:57], s[20:21]
; %bb.997:                              ;   in Loop: Header=BB10_859 Depth=1
	v_mad_i64_i32 v[1:2], s[20:21], v14, v43, 0
; %bb.998:                              ;   in Loop: Header=BB10_859 Depth=1
	s_or_b64 exec, exec, s[56:57]
	buffer_load_dword v3, off, s[0:3], s33 offset:100 ; 4-byte Folded Reload
	buffer_load_dword v4, off, s[0:3], s33 offset:104 ; 4-byte Folded Reload
	v_lshlrev_b64 v[1:2], 1, v[1:2]
	s_waitcnt vmcnt(0)
	v_add_co_u32_e32 v1, vcc, v3, v1
	v_addc_co_u32_e32 v2, vcc, v4, v2, vcc
	ds_write_b64 v0, v[1:2] offset:784
	v_and_b32_e32 v1, 0x2000, v56
	v_cmp_ne_u32_e32 vcc, 0, v1
	s_and_saveexec_b64 s[20:21], vcc
	s_cbranch_execz .LBB10_1000
; %bb.999:                              ;   in Loop: Header=BB10_859 Depth=1
	ds_read_b64 v[1:2], v0 offset:872
	s_waitcnt lgkmcnt(0)
	v_add_co_u32_e32 v1, vcc, 1, v1
	v_addc_co_u32_e32 v2, vcc, 0, v2, vcc
	ds_write_b64 v0, v[1:2] offset:872
.LBB10_1000:                            ;   in Loop: Header=BB10_859 Depth=1
	s_or_b64 exec, exec, s[20:21]
	v_mov_b32_e32 v18, v13
	v_mov_b32_e32 v17, v12
.LBB10_1001:                            ;   in Loop: Header=BB10_859 Depth=1
	s_or_b64 exec, exec, s[44:45]
	s_and_saveexec_b64 s[20:21], s[10:11]
	s_cbranch_execz .LBB10_1020
; %bb.1002:                             ;   in Loop: Header=BB10_859 Depth=1
	s_and_saveexec_b64 s[44:45], s[28:29]
	s_xor_b64 s[44:45], exec, s[44:45]
	s_cbranch_execz .LBB10_1017
; %bb.1003:                             ;   in Loop: Header=BB10_859 Depth=1
	s_and_saveexec_b64 s[56:57], s[12:13]
	s_cbranch_execz .LBB10_1016
; %bb.1004:                             ;   in Loop: Header=BB10_859 Depth=1
	s_mov_b64 s[60:61], exec
	v_mbcnt_lo_u32_b32 v1, s60, 0
	v_mbcnt_hi_u32_b32 v1, s61, v1
	v_cmp_eq_u32_e32 vcc, 0, v1
	s_waitcnt vmcnt(0) lgkmcnt(0)
	buffer_wbinvl1_vol
	s_and_saveexec_b64 s[58:59], vcc
	s_cbranch_execz .LBB10_1006
; %bb.1005:                             ;   in Loop: Header=BB10_859 Depth=1
	s_bcnt1_i32_b64 s60, s[60:61]
	v_mov_b32_e32 v6, s60
	ds_add_u64 v0, v[6:7]
	s_trap 2
.LBB10_1006:                            ;   in Loop: Header=BB10_859 Depth=1
	s_or_b64 exec, exec, s[58:59]
	s_trap 2
	ds_read_b64 v[1:2], v0
	s_waitcnt lgkmcnt(0)
	v_add_co_u32_e32 v44, vcc, v44, v57
	v_addc_co_u32_e32 v45, vcc, 0, v45, vcc
	v_cmp_lt_u64_e32 vcc, v[1:2], v[44:45]
	s_and_saveexec_b64 s[58:59], vcc
	s_cbranch_execz .LBB10_1015
; %bb.1007:                             ;   in Loop: Header=BB10_859 Depth=1
	s_mov_b32 s88, 0
	s_mov_b64 s[60:61], 0
                                        ; implicit-def: $sgpr62_sgpr63
                                        ; implicit-def: $sgpr72_sgpr73
	s_branch .LBB10_1009
.LBB10_1008:                            ;   in Loop: Header=BB10_1009 Depth=2
	s_or_b64 exec, exec, s[76:77]
	s_and_b64 s[74:75], exec, s[78:79]
	s_or_b64 s[60:61], s[74:75], s[60:61]
	s_andn2_b64 s[62:63], s[62:63], exec
	s_and_b64 s[74:75], s[72:73], exec
	s_or_b64 s[62:63], s[62:63], s[74:75]
	s_andn2_b64 exec, exec, s[60:61]
	s_cbranch_execz .LBB10_1013
.LBB10_1009:                            ;   Parent Loop BB10_859 Depth=1
                                        ; =>  This Inner Loop Header: Depth=2
	s_add_i32 s88, s88, 1
	s_cmpk_lg_i32 s88, 0x2710
	s_cselect_b64 s[74:75], -1, 0
	s_and_b64 vcc, exec, s[74:75]
	s_cbranch_vccz .LBB10_1011
; %bb.1010:                             ;   in Loop: Header=BB10_1009 Depth=2
	s_mov_b64 s[78:79], -1
	s_or_b64 s[72:73], s[72:73], exec
	s_and_saveexec_b64 s[76:77], s[74:75]
	s_cbranch_execz .LBB10_1008
	s_branch .LBB10_1012
.LBB10_1011:                            ;   in Loop: Header=BB10_1009 Depth=2
	s_trap 2
	ds_read_b64 v[1:2], v0
	s_andn2_b64 s[74:75], s[74:75], exec
	s_mov_b32 s88, 0
	s_waitcnt lgkmcnt(0)
	flat_load_dword v1, v[1:2] glc
	s_waitcnt vmcnt(0) lgkmcnt(0)
	buffer_wbinvl1_vol
	v_cmp_eq_u32_e32 vcc, 0, v1
	s_and_b64 s[76:77], vcc, exec
	s_or_b64 s[74:75], s[74:75], s[76:77]
	s_mov_b64 s[78:79], -1
	s_or_b64 s[72:73], s[72:73], exec
	s_and_saveexec_b64 s[76:77], s[74:75]
	s_cbranch_execz .LBB10_1008
.LBB10_1012:                            ;   in Loop: Header=BB10_1009 Depth=2
	s_sleep 1
	s_trap 2
	ds_read_b64 v[1:2], v0
	s_waitcnt lgkmcnt(0)
	s_andn2_b64 s[72:73], s[72:73], exec
	v_cmp_ge_u64_e32 vcc, v[1:2], v[44:45]
	s_orn2_b64 s[78:79], vcc, exec
	s_branch .LBB10_1008
.LBB10_1013:                            ;   in Loop: Header=BB10_859 Depth=1
	s_or_b64 exec, exec, s[60:61]
	s_and_saveexec_b64 s[60:61], s[62:63]
	s_xor_b64 s[60:61], exec, s[60:61]
	s_cbranch_execz .LBB10_1015
; %bb.1014:                             ;   in Loop: Header=BB10_859 Depth=1
	ds_write_b32 v0, v20
	s_trap 2
.LBB10_1015:                            ;   in Loop: Header=BB10_859 Depth=1
	s_or_b64 exec, exec, s[58:59]
	;;#ASMSTART
	s_wakeup
	;;#ASMEND
.LBB10_1016:                            ;   in Loop: Header=BB10_859 Depth=1
	s_or_b64 exec, exec, s[56:57]
.LBB10_1017:                            ;   in Loop: Header=BB10_859 Depth=1
	s_andn2_saveexec_b64 s[44:45], s[44:45]
	s_cbranch_execz .LBB10_1019
; %bb.1018:                             ;   in Loop: Header=BB10_859 Depth=1
	s_waitcnt vmcnt(0) lgkmcnt(0)
	buffer_wbinvl1_vol
	s_barrier
.LBB10_1019:                            ;   in Loop: Header=BB10_859 Depth=1
	s_or_b64 exec, exec, s[44:45]
.LBB10_1020:                            ;   in Loop: Header=BB10_859 Depth=1
	s_or_b64 exec, exec, s[20:21]
	s_trap 2
	ds_read_b32 v1, v0
	v_cmp_lt_i32_e32 vcc, 0, v0
	v_and_b32_e32 v0, 16, v56
	s_waitcnt lgkmcnt(0)
	v_readfirstlane_b32 s20, v1
	s_cmp_eq_u32 s20, 0
	s_cselect_b64 s[20:21], -1, 0
	s_and_b64 s[20:21], vcc, s[20:21]
	v_cmp_ne_u32_e32 vcc, 0, v0
	s_and_b64 s[44:45], vcc, s[20:21]
	s_and_saveexec_b64 s[20:21], s[44:45]
	s_cbranch_execz .LBB10_1022
; %bb.1021:                             ;   in Loop: Header=BB10_859 Depth=1
	s_waitcnt vmcnt(0)
	buffer_wbinvl1_vol
.LBB10_1022:                            ;   in Loop: Header=BB10_859 Depth=1
	s_or_b64 exec, exec, s[20:21]
	v_cmp_ne_u32_e32 vcc, 0, v0
	s_and_saveexec_b64 s[20:21], vcc
	s_cbranch_execz .LBB10_857
; %bb.1023:                             ;   in Loop: Header=BB10_859 Depth=1
	s_and_saveexec_b64 s[44:45], s[18:19]
	s_cbranch_execz .LBB10_856
; %bb.1024:                             ;   in Loop: Header=BB10_859 Depth=1
	buffer_load_dword v0, off, s[0:3], s33 offset:108 ; 4-byte Folded Reload
	buffer_load_dword v1, off, s[0:3], s33 offset:112 ; 4-byte Folded Reload
	s_waitcnt vmcnt(0)
	flat_store_dword v[0:1], v20
	s_branch .LBB10_856
.LBB10_1025:
	s_or_b64 exec, exec, s[40:41]
	buffer_load_dword v31, off, s[0:3], s33 offset:156 ; 4-byte Folded Reload
	buffer_load_dword v23, off, s[0:3], s33 offset:160 ; 4-byte Folded Reload
.LBB10_1026:
	s_or_b64 exec, exec, s[26:27]
.LBB10_1027:
	s_or_b64 exec, exec, s[24:25]
	v_and_b32_e32 v0, 0x800, v56
	v_cmp_eq_u32_e32 vcc, 0, v0
	s_and_saveexec_b64 s[6:7], vcc
	s_cbranch_execz .LBB10_1060
; %bb.1028:
	v_and_b32_e32 v0, 48, v56
	v_cmp_ne_u32_e32 vcc, 0, v0
	s_and_saveexec_b64 s[4:5], vcc
	s_cbranch_execz .LBB10_1030
; %bb.1029:
	buffer_load_dword v0, off, s[0:3], s33 offset:60 ; 4-byte Folded Reload
	buffer_load_dword v1, off, s[0:3], s33 offset:64 ; 4-byte Folded Reload
	;; [unrolled: 1-line block ×4, first 2 shown]
	s_waitcnt vmcnt(0)
	flat_store_dwordx2 v[52:53], v[2:3] offset:104
.LBB10_1030:
	s_or_b64 exec, exec, s[4:5]
	s_movk_i32 s4, 0x88
	v_and_b32_e32 v0, 0x88, v56
	v_cmp_eq_u32_e32 vcc, s4, v0
	s_and_saveexec_b64 s[10:11], vcc
	s_cbranch_execz .LBB10_1040
; %bb.1031:
	buffer_load_dword v0, off, s[0:3], s33 offset:60 ; 4-byte Folded Reload
	buffer_load_dword v1, off, s[0:3], s33 offset:64 ; 4-byte Folded Reload
	;; [unrolled: 1-line block ×4, first 2 shown]
	v_and_b32_e32 v4, 64, v56
	s_mov_b32 s24, 0
	s_waitcnt vmcnt(0)
	v_mov_b32_e32 v3, v2
	v_mov_b32_e32 v2, v1
	;; [unrolled: 1-line block ×3, first 2 shown]
	v_add_u32_e32 v0, -1, v3
	v_and_b32_e32 v0, 7, v0
	v_mad_u64_u32 v[0:1], s[4:5], v0, 24, v[1:2]
	v_cmp_eq_u32_e64 s[4:5], 0, v4
	flat_load_dwordx2 v[2:3], v[0:1] offset:8 glc
	s_waitcnt vmcnt(0) lgkmcnt(0)
	v_cmp_ne_u64_e32 vcc, -1, v[2:3]
	s_and_b64 s[4:5], vcc, s[4:5]
	s_and_b64 exec, exec, s[4:5]
	s_cbranch_execz .LBB10_1040
; %bb.1032:
	s_mov_b64 s[4:5], 0
                                        ; implicit-def: $sgpr12_sgpr13
                                        ; implicit-def: $sgpr14_sgpr15
	s_branch .LBB10_1035
.LBB10_1033:                            ;   in Loop: Header=BB10_1035 Depth=1
	flat_load_dwordx2 v[3:4], v[0:1] offset:8 glc
	s_waitcnt vmcnt(0)
	s_andn2_b64 s[14:15], s[14:15], exec
	s_waitcnt lgkmcnt(0)
	v_cmp_eq_u64_e32 vcc, -1, v[3:4]
	s_orn2_b64 s[18:19], vcc, exec
.LBB10_1034:                            ;   in Loop: Header=BB10_1035 Depth=1
	s_or_b64 exec, exec, s[20:21]
	s_and_b64 s[16:17], exec, s[18:19]
	s_or_b64 s[4:5], s[16:17], s[4:5]
	s_andn2_b64 s[12:13], s[12:13], exec
	s_and_b64 s[16:17], s[14:15], exec
	s_or_b64 s[12:13], s[12:13], s[16:17]
	s_andn2_b64 exec, exec, s[4:5]
	s_cbranch_execz .LBB10_1038
.LBB10_1035:                            ; =>This Inner Loop Header: Depth=1
	s_cmpk_lt_i32 s24, 0x270f
	s_cselect_b64 s[16:17], -1, 0
	s_and_b64 vcc, exec, s[16:17]
	s_cbranch_vccnz .LBB10_1037
; %bb.1036:                             ;   in Loop: Header=BB10_1035 Depth=1
	s_trap 2
	ds_read_b64 v[2:3], v0
	s_andn2_b64 s[16:17], s[16:17], exec
	s_mov_b32 s24, 0
	s_waitcnt lgkmcnt(0)
	flat_load_dword v2, v[2:3] glc
	s_waitcnt vmcnt(0) lgkmcnt(0)
	buffer_wbinvl1_vol
	v_cmp_eq_u32_e32 vcc, 0, v2
	s_and_b64 s[18:19], vcc, exec
	s_or_b64 s[16:17], s[16:17], s[18:19]
	s_mov_b64 s[18:19], -1
	s_or_b64 s[14:15], s[14:15], exec
	s_and_saveexec_b64 s[20:21], s[16:17]
	s_cbranch_execz .LBB10_1034
	s_branch .LBB10_1033
.LBB10_1037:                            ;   in Loop: Header=BB10_1035 Depth=1
	s_add_i32 s24, s24, 1
                                        ; implicit-def: $vgpr2
	s_mov_b64 s[18:19], -1
	s_or_b64 s[14:15], s[14:15], exec
	s_and_saveexec_b64 s[20:21], s[16:17]
	s_cbranch_execz .LBB10_1034
	s_branch .LBB10_1033
.LBB10_1038:
	s_or_b64 exec, exec, s[4:5]
	s_and_saveexec_b64 s[4:5], s[12:13]
	s_xor_b64 s[4:5], exec, s[4:5]
	s_cbranch_execz .LBB10_1040
; %bb.1039:
	ds_write_b32 v0, v2
	s_trap 2
.LBB10_1040:
	s_or_b64 exec, exec, s[10:11]
	v_and_b32_e32 v0, 0x2000, v56
	v_cmp_ne_u32_e32 vcc, 0, v0
	s_and_saveexec_b64 s[4:5], vcc
	s_cbranch_execz .LBB10_1042
; %bb.1041:
	s_trap 2
	ds_read_b64 v[0:1], v0
	buffer_load_dword v2, off, s[0:3], s33 offset:176 ; 4-byte Folded Reload
	buffer_load_dword v3, off, s[0:3], s33 offset:180 ; 4-byte Folded Reload
	s_waitcnt vmcnt(0) lgkmcnt(0)
	flat_store_dwordx2 v[2:3], v[0:1] offset:16
.LBB10_1042:
	s_or_b64 exec, exec, s[4:5]
	s_waitcnt vmcnt(0)
	v_cmp_ne_u32_e32 vcc, 64, v54
	s_and_b64 exec, exec, vcc
	s_cbranch_execz .LBB10_1060
; %bb.1043:
	v_cmp_ne_u32_sdwa s[4:5], v54, v23 src0_sel:DWORD src1_sel:WORD_0
	s_and_saveexec_b64 s[10:11], s[4:5]
	s_xor_b64 s[4:5], exec, s[10:11]
	s_cbranch_execz .LBB10_1058
; %bb.1044:
	v_and_b32_e32 v0, 63, v31
	v_cmp_eq_u32_e32 vcc, 0, v0
	s_and_saveexec_b64 s[10:11], vcc
	s_cbranch_execz .LBB10_1057
; %bb.1045:
	s_mov_b64 s[14:15], exec
	v_mbcnt_lo_u32_b32 v0, s14, 0
	v_mbcnt_hi_u32_b32 v0, s15, v0
	v_cmp_eq_u32_e32 vcc, 0, v0
	s_waitcnt lgkmcnt(0)
	buffer_wbinvl1_vol
	s_and_saveexec_b64 s[12:13], vcc
	s_cbranch_execz .LBB10_1047
; %bb.1046:
	s_bcnt1_i32_b64 s14, s[14:15]
	v_mov_b32_e32 v0, s14
	v_mov_b32_e32 v1, 0
	ds_add_u64 v0, v[0:1]
	s_trap 2
.LBB10_1047:
	s_or_b64 exec, exec, s[12:13]
	v_lshrrev_b32_e32 v0, 6, v54
	s_trap 2
	ds_read_b64 v[2:3], v0
	s_waitcnt lgkmcnt(0)
	v_add_co_u32_e32 v0, vcc, v44, v0
	v_addc_co_u32_e32 v1, vcc, 0, v45, vcc
	v_cmp_lt_u64_e32 vcc, v[2:3], v[0:1]
	s_and_saveexec_b64 s[12:13], vcc
	s_cbranch_execz .LBB10_1056
; %bb.1048:
	s_mov_b32 s28, 0
	s_mov_b64 s[14:15], 0
                                        ; implicit-def: $sgpr16_sgpr17
                                        ; implicit-def: $sgpr18_sgpr19
	s_branch .LBB10_1050
.LBB10_1049:                            ;   in Loop: Header=BB10_1050 Depth=1
	s_or_b64 exec, exec, s[24:25]
	s_and_b64 s[20:21], exec, s[26:27]
	s_or_b64 s[14:15], s[20:21], s[14:15]
	s_andn2_b64 s[16:17], s[16:17], exec
	s_and_b64 s[20:21], s[18:19], exec
	s_or_b64 s[16:17], s[16:17], s[20:21]
	s_andn2_b64 exec, exec, s[14:15]
	s_cbranch_execz .LBB10_1054
.LBB10_1050:                            ; =>This Inner Loop Header: Depth=1
	s_add_i32 s28, s28, 1
	s_cmpk_lg_i32 s28, 0x2710
	s_cselect_b64 s[20:21], -1, 0
	s_and_b64 vcc, exec, s[20:21]
	s_cbranch_vccz .LBB10_1052
; %bb.1051:                             ;   in Loop: Header=BB10_1050 Depth=1
	s_mov_b64 s[26:27], -1
	s_or_b64 s[18:19], s[18:19], exec
	s_and_saveexec_b64 s[24:25], s[20:21]
	s_cbranch_execz .LBB10_1049
	s_branch .LBB10_1053
.LBB10_1052:                            ;   in Loop: Header=BB10_1050 Depth=1
	s_trap 2
	ds_read_b64 v[2:3], v0
	s_andn2_b64 s[20:21], s[20:21], exec
	s_mov_b32 s28, 0
	s_waitcnt lgkmcnt(0)
	flat_load_dword v2, v[2:3] glc
	s_waitcnt vmcnt(0) lgkmcnt(0)
	buffer_wbinvl1_vol
	v_cmp_eq_u32_e32 vcc, 0, v2
	s_and_b64 s[24:25], vcc, exec
	s_or_b64 s[20:21], s[20:21], s[24:25]
	s_mov_b64 s[26:27], -1
	s_or_b64 s[18:19], s[18:19], exec
	s_and_saveexec_b64 s[24:25], s[20:21]
	s_cbranch_execz .LBB10_1049
.LBB10_1053:                            ;   in Loop: Header=BB10_1050 Depth=1
	s_sleep 1
	s_trap 2
	ds_read_b64 v[2:3], v0
	s_waitcnt lgkmcnt(0)
	s_andn2_b64 s[18:19], s[18:19], exec
	v_cmp_ge_u64_e32 vcc, v[2:3], v[0:1]
	s_orn2_b64 s[26:27], vcc, exec
	s_branch .LBB10_1049
.LBB10_1054:
	s_or_b64 exec, exec, s[14:15]
	s_and_saveexec_b64 s[14:15], s[16:17]
	s_xor_b64 s[14:15], exec, s[14:15]
	s_cbranch_execz .LBB10_1056
; %bb.1055:
	v_mov_b32_e32 v0, 1
	ds_write_b32 v0, v0
	s_trap 2
.LBB10_1056:
	s_or_b64 exec, exec, s[12:13]
	;;#ASMSTART
	s_wakeup
	;;#ASMEND
.LBB10_1057:
	s_or_b64 exec, exec, s[10:11]
.LBB10_1058:
	s_andn2_saveexec_b64 s[4:5], s[4:5]
	s_cbranch_execz .LBB10_1060
; %bb.1059:
	s_waitcnt lgkmcnt(0)
	buffer_wbinvl1_vol
	s_barrier
.LBB10_1060:
	s_or_b64 exec, exec, s[6:7]
.LBB10_1061:
	s_andn2_saveexec_b64 s[26:27], s[22:23]
	s_cbranch_execz .LBB10_1063
; %bb.1062:
	s_getpc_b64 s[4:5]
	s_add_u32 s4, s4, __PRETTY_FUNCTION__._ZN10PrimitivesI12hip_bfloat167FuncSumIS0_E12FanSymmetricILi1EELi0E11ProtoSimpleILi1ELi1ELi0ELi4ELi0ELi0EELi0ELb0ELi0ELi0ELi0EEC2EiiPKiS9_PKvPvmhhhP15ncclDevWorkCollP14ncclDevWorkP2pii@rel32@lo+4
	s_addc_u32 s5, s5, __PRETTY_FUNCTION__._ZN10PrimitivesI12hip_bfloat167FuncSumIS0_E12FanSymmetricILi1EELi0E11ProtoSimpleILi1ELi1ELi0ELi4ELi0ELi0EELi0ELb0ELi0ELi0ELi0EEC2EiiPKiS9_PKvPvmhhhP15ncclDevWorkCollP14ncclDevWorkP2pii@rel32@hi+12
	s_getpc_b64 s[6:7]
	s_add_u32 s6, s6, __assert_fail@rel32@lo+4
	s_addc_u32 s7, s7, __assert_fail@rel32@hi+12
	v_mov_b32_e32 v0, s4
	v_mov_b32_e32 v1, s5
	s_swappc_b64 s[30:31], s[6:7]
	; divergent unreachable
.LBB10_1063:
	s_or_b64 exec, exec, s[26:27]
	buffer_load_dword v62, off, s[0:3], s33 ; 4-byte Folded Reload
	buffer_load_dword v61, off, s[0:3], s33 offset:4 ; 4-byte Folded Reload
	buffer_load_dword v60, off, s[0:3], s33 offset:8 ; 4-byte Folded Reload
	;; [unrolled: 1-line block ×14, first 2 shown]
	v_readlane_b32 s30, v63, 6
	v_readlane_b32 s31, v63, 7
	;; [unrolled: 1-line block ×8, first 2 shown]
	s_mov_b32 s32, s33
	v_readlane_b32 s4, v63, 8
	s_or_saveexec_b64 s[6:7], -1
	buffer_load_dword v63, off, s[0:3], s33 offset:216 ; 4-byte Folded Reload
	s_mov_b64 exec, s[6:7]
	s_mov_b32 s33, s4
	s_waitcnt vmcnt(0) lgkmcnt(0)
	s_setpc_b64 s[30:31]
.Lfunc_end10:
	.size	_ZN12_GLOBAL__N_17runRingI12hip_bfloat167FuncSumIS1_E11ProtoSimpleILi1ELi1ELi0ELi4ELi0ELi0EELi0ELi4ELi0EEEviiP15ncclDevWorkColl, .Lfunc_end10-_ZN12_GLOBAL__N_17runRingI12hip_bfloat167FuncSumIS1_E11ProtoSimpleILi1ELi1ELi0ELi4ELi0ELi0EELi0ELi4ELi0EEEviiP15ncclDevWorkColl
                                        ; -- End function
	.set .L_ZN12_GLOBAL__N_17runRingI12hip_bfloat167FuncSumIS1_E11ProtoSimpleILi1ELi1ELi0ELi4ELi0ELi0EELi0ELi4ELi0EEEviiP15ncclDevWorkColl.num_vgpr, max(64, .L__assert_fail.num_vgpr)
	.set .L_ZN12_GLOBAL__N_17runRingI12hip_bfloat167FuncSumIS1_E11ProtoSimpleILi1ELi1ELi0ELi4ELi0ELi0EELi0ELi4ELi0EEEviiP15ncclDevWorkColl.num_agpr, max(0, .L__assert_fail.num_agpr)
	.set .L_ZN12_GLOBAL__N_17runRingI12hip_bfloat167FuncSumIS1_E11ProtoSimpleILi1ELi1ELi0ELi4ELi0ELi0EELi0ELi4ELi0EEEviiP15ncclDevWorkColl.numbered_sgpr, max(96, .L__assert_fail.numbered_sgpr)
	.set .L_ZN12_GLOBAL__N_17runRingI12hip_bfloat167FuncSumIS1_E11ProtoSimpleILi1ELi1ELi0ELi4ELi0ELi0EELi0ELi4ELi0EEEviiP15ncclDevWorkColl.num_named_barrier, max(0, .L__assert_fail.num_named_barrier)
	.set .L_ZN12_GLOBAL__N_17runRingI12hip_bfloat167FuncSumIS1_E11ProtoSimpleILi1ELi1ELi0ELi4ELi0ELi0EELi0ELi4ELi0EEEviiP15ncclDevWorkColl.private_seg_size, 224+max(.L__assert_fail.private_seg_size)
	.set .L_ZN12_GLOBAL__N_17runRingI12hip_bfloat167FuncSumIS1_E11ProtoSimpleILi1ELi1ELi0ELi4ELi0ELi0EELi0ELi4ELi0EEEviiP15ncclDevWorkColl.uses_vcc, or(1, .L__assert_fail.uses_vcc)
	.set .L_ZN12_GLOBAL__N_17runRingI12hip_bfloat167FuncSumIS1_E11ProtoSimpleILi1ELi1ELi0ELi4ELi0ELi0EELi0ELi4ELi0EEEviiP15ncclDevWorkColl.uses_flat_scratch, or(0, .L__assert_fail.uses_flat_scratch)
	.set .L_ZN12_GLOBAL__N_17runRingI12hip_bfloat167FuncSumIS1_E11ProtoSimpleILi1ELi1ELi0ELi4ELi0ELi0EELi0ELi4ELi0EEEviiP15ncclDevWorkColl.has_dyn_sized_stack, or(0, .L__assert_fail.has_dyn_sized_stack)
	.set .L_ZN12_GLOBAL__N_17runRingI12hip_bfloat167FuncSumIS1_E11ProtoSimpleILi1ELi1ELi0ELi4ELi0ELi0EELi0ELi4ELi0EEEviiP15ncclDevWorkColl.has_recursion, or(1, .L__assert_fail.has_recursion)
	.set .L_ZN12_GLOBAL__N_17runRingI12hip_bfloat167FuncSumIS1_E11ProtoSimpleILi1ELi1ELi0ELi4ELi0ELi0EELi0ELi4ELi0EEEviiP15ncclDevWorkColl.has_indirect_call, or(0, .L__assert_fail.has_indirect_call)
	.section	.AMDGPU.csdata,"",@progbits
; Function info:
; codeLenInByte = 32412
; TotalNumSgprs: 100
; NumVgprs: 64
; ScratchSize: 288
; MemoryBound: 1
	.text
	.p2align	2                               ; -- Begin function _Z45ncclDevFunc_Reduce_RING_SIMPLE_Sum_bf16_0_0_4v
	.type	_Z45ncclDevFunc_Reduce_RING_SIMPLE_Sum_bf16_0_0_4v,@function
_Z45ncclDevFunc_Reduce_RING_SIMPLE_Sum_bf16_0_0_4v: ; @_Z45ncclDevFunc_Reduce_RING_SIMPLE_Sum_bf16_0_0_4v
; %bb.0:
	s_waitcnt vmcnt(0) expcnt(0) lgkmcnt(0)
	s_mov_b32 s4, s33
	s_mov_b32 s33, s32
	s_or_saveexec_b64 s[6:7], -1
	buffer_store_dword v43, off, s[0:3], s33 offset:16 ; 4-byte Folded Spill
	s_mov_b64 exec, s[6:7]
	v_writelane_b32 v43, s4, 14
	s_addk_i32 s32, 0x800
	buffer_store_dword v40, off, s[0:3], s33 offset:12 ; 4-byte Folded Spill
	buffer_store_dword v41, off, s[0:3], s33 offset:8 ; 4-byte Folded Spill
	;; [unrolled: 1-line block ×3, first 2 shown]
	buffer_store_dword v63, off, s[0:3], s33 ; 4-byte Folded Spill
	v_writelane_b32 v43, s34, 0
	v_writelane_b32 v43, s35, 1
	;; [unrolled: 1-line block ×14, first 2 shown]
	s_trap 2
	ds_read_b32 v0, v0
	v_mov_b32_e32 v40, v31
	s_mov_b32 s50, s12
	s_mov_b64 s[48:49], s[8:9]
	s_waitcnt lgkmcnt(0)
	v_cmp_gt_i32_e32 vcc, 1, v0
	s_cbranch_vccnz .LBB11_8
; %bb.1:
	s_mov_b32 s51, 0
	v_and_b32_e32 v41, 0x3ff, v40
	v_mov_b32_e32 v42, 6
	s_branch .LBB11_3
.LBB11_2:                               ;   in Loop: Header=BB11_3 Depth=1
	s_or_b64 exec, exec, s[52:53]
	s_trap 2
	ds_read_b32 v0, v0
	s_add_i32 s51, s51, 1
	s_waitcnt lgkmcnt(0)
	v_cmp_lt_i32_e32 vcc, s51, v0
	s_cbranch_vccz .LBB11_8
.LBB11_3:                               ; =>This Inner Loop Header: Depth=1
	s_trap 2
	ds_read_b32 v0, v0
	s_cmp_eq_u32 s51, 0
	s_cbranch_scc1 .LBB11_6
; %bb.4:                                ;   in Loop: Header=BB11_3 Depth=1
	s_trap 2
	s_waitcnt lgkmcnt(0)
	ds_read_b32 v1, v0
	s_waitcnt lgkmcnt(0)
	v_xor_b32_e32 v1, v1, v0
	v_and_b32_e32 v1, 0xff0000, v1
	v_cmp_eq_u32_e32 vcc, 0, v1
	s_cbranch_vccnz .LBB11_6
; %bb.5:                                ;   in Loop: Header=BB11_3 Depth=1
	s_waitcnt vmcnt(0)
	s_barrier
	ds_read_b32 v0, v0
.LBB11_6:                               ;   in Loop: Header=BB11_3 Depth=1
	s_waitcnt lgkmcnt(0)
	v_lshlrev_b32_sdwa v1, v42, v0 dst_sel:DWORD dst_unused:UNUSED_PAD src0_sel:DWORD src1_sel:BYTE_2
	v_cmp_lt_u32_e32 vcc, v41, v1
	s_and_saveexec_b64 s[52:53], vcc
	s_cbranch_execz .LBB11_2
; %bb.7:                                ;   in Loop: Header=BB11_3 Depth=1
	s_mov_b64 s[4:5], src_shared_base
	s_getpc_b64 s[6:7]
	s_add_u32 s6, s6, _ZN12_GLOBAL__N_17runRingI12hip_bfloat167FuncSumIS1_E11ProtoSimpleILi1ELi1ELi0ELi4ELi0ELi0EELi0ELi4ELi0EEEviiP15ncclDevWorkColl@rel32@lo+4
	s_addc_u32 s7, s7, _ZN12_GLOBAL__N_17runRingI12hip_bfloat167FuncSumIS1_E11ProtoSimpleILi1ELi1ELi0ELi4ELi0ELi0EELi0ELi4ELi0EEEviiP15ncclDevWorkColl@rel32@hi+12
	s_mov_b64 s[8:9], s[48:49]
	s_mov_b32 s12, s50
	v_mov_b32_e32 v31, v40
	v_mov_b32_e32 v0, v41
	;; [unrolled: 1-line block ×3, first 2 shown]
	s_swappc_b64 s[30:31], s[6:7]
	s_branch .LBB11_2
.LBB11_8:
	buffer_load_dword v63, off, s[0:3], s33 ; 4-byte Folded Reload
	buffer_load_dword v42, off, s[0:3], s33 offset:4 ; 4-byte Folded Reload
	buffer_load_dword v41, off, s[0:3], s33 offset:8 ; 4-byte Folded Reload
	;; [unrolled: 1-line block ×3, first 2 shown]
	v_readlane_b32 s30, v43, 12
	v_readlane_b32 s31, v43, 13
	;; [unrolled: 1-line block ×14, first 2 shown]
	s_mov_b32 s32, s33
	v_readlane_b32 s4, v43, 14
	s_or_saveexec_b64 s[6:7], -1
	buffer_load_dword v43, off, s[0:3], s33 offset:16 ; 4-byte Folded Reload
	s_mov_b64 exec, s[6:7]
	s_mov_b32 s33, s4
	s_waitcnt vmcnt(0)
	s_setpc_b64 s[30:31]
.Lfunc_end11:
	.size	_Z45ncclDevFunc_Reduce_RING_SIMPLE_Sum_bf16_0_0_4v, .Lfunc_end11-_Z45ncclDevFunc_Reduce_RING_SIMPLE_Sum_bf16_0_0_4v
                                        ; -- End function
	.set .L_Z45ncclDevFunc_Reduce_RING_SIMPLE_Sum_bf16_0_0_4v.num_vgpr, max(64, .L_ZN12_GLOBAL__N_17runRingI12hip_bfloat167FuncSumIS1_E11ProtoSimpleILi1ELi1ELi0ELi4ELi0ELi0EELi0ELi4ELi0EEEviiP15ncclDevWorkColl.num_vgpr)
	.set .L_Z45ncclDevFunc_Reduce_RING_SIMPLE_Sum_bf16_0_0_4v.num_agpr, max(0, .L_ZN12_GLOBAL__N_17runRingI12hip_bfloat167FuncSumIS1_E11ProtoSimpleILi1ELi1ELi0ELi4ELi0ELi0EELi0ELi4ELi0EEEviiP15ncclDevWorkColl.num_agpr)
	.set .L_Z45ncclDevFunc_Reduce_RING_SIMPLE_Sum_bf16_0_0_4v.numbered_sgpr, max(54, .L_ZN12_GLOBAL__N_17runRingI12hip_bfloat167FuncSumIS1_E11ProtoSimpleILi1ELi1ELi0ELi4ELi0ELi0EELi0ELi4ELi0EEEviiP15ncclDevWorkColl.numbered_sgpr)
	.set .L_Z45ncclDevFunc_Reduce_RING_SIMPLE_Sum_bf16_0_0_4v.num_named_barrier, max(0, .L_ZN12_GLOBAL__N_17runRingI12hip_bfloat167FuncSumIS1_E11ProtoSimpleILi1ELi1ELi0ELi4ELi0ELi0EELi0ELi4ELi0EEEviiP15ncclDevWorkColl.num_named_barrier)
	.set .L_Z45ncclDevFunc_Reduce_RING_SIMPLE_Sum_bf16_0_0_4v.private_seg_size, 32+max(.L_ZN12_GLOBAL__N_17runRingI12hip_bfloat167FuncSumIS1_E11ProtoSimpleILi1ELi1ELi0ELi4ELi0ELi0EELi0ELi4ELi0EEEviiP15ncclDevWorkColl.private_seg_size)
	.set .L_Z45ncclDevFunc_Reduce_RING_SIMPLE_Sum_bf16_0_0_4v.uses_vcc, or(1, .L_ZN12_GLOBAL__N_17runRingI12hip_bfloat167FuncSumIS1_E11ProtoSimpleILi1ELi1ELi0ELi4ELi0ELi0EELi0ELi4ELi0EEEviiP15ncclDevWorkColl.uses_vcc)
	.set .L_Z45ncclDevFunc_Reduce_RING_SIMPLE_Sum_bf16_0_0_4v.uses_flat_scratch, or(0, .L_ZN12_GLOBAL__N_17runRingI12hip_bfloat167FuncSumIS1_E11ProtoSimpleILi1ELi1ELi0ELi4ELi0ELi0EELi0ELi4ELi0EEEviiP15ncclDevWorkColl.uses_flat_scratch)
	.set .L_Z45ncclDevFunc_Reduce_RING_SIMPLE_Sum_bf16_0_0_4v.has_dyn_sized_stack, or(0, .L_ZN12_GLOBAL__N_17runRingI12hip_bfloat167FuncSumIS1_E11ProtoSimpleILi1ELi1ELi0ELi4ELi0ELi0EELi0ELi4ELi0EEEviiP15ncclDevWorkColl.has_dyn_sized_stack)
	.set .L_Z45ncclDevFunc_Reduce_RING_SIMPLE_Sum_bf16_0_0_4v.has_recursion, or(1, .L_ZN12_GLOBAL__N_17runRingI12hip_bfloat167FuncSumIS1_E11ProtoSimpleILi1ELi1ELi0ELi4ELi0ELi0EELi0ELi4ELi0EEEviiP15ncclDevWorkColl.has_recursion)
	.set .L_Z45ncclDevFunc_Reduce_RING_SIMPLE_Sum_bf16_0_0_4v.has_indirect_call, or(0, .L_ZN12_GLOBAL__N_17runRingI12hip_bfloat167FuncSumIS1_E11ProtoSimpleILi1ELi1ELi0ELi4ELi0ELi0EELi0ELi4ELi0EEEviiP15ncclDevWorkColl.has_indirect_call)
	.section	.AMDGPU.csdata,"",@progbits
; Function info:
; codeLenInByte = 608
; TotalNumSgprs: 100
; NumVgprs: 64
; ScratchSize: 320
; MemoryBound: 0
	.text
	.p2align	2                               ; -- Begin function _ZN12_GLOBAL__N_17runRingI12hip_bfloat167FuncSumIS1_E11ProtoSimpleILi1ELi1ELi0ELi4ELi0ELi0EELi0ELi4ELi1EEEviiP15ncclDevWorkColl
	.type	_ZN12_GLOBAL__N_17runRingI12hip_bfloat167FuncSumIS1_E11ProtoSimpleILi1ELi1ELi0ELi4ELi0ELi0EELi0ELi4ELi1EEEviiP15ncclDevWorkColl,@function
_ZN12_GLOBAL__N_17runRingI12hip_bfloat167FuncSumIS1_E11ProtoSimpleILi1ELi1ELi0ELi4ELi0ELi0EELi0ELi4ELi1EEEviiP15ncclDevWorkColl: ; @_ZN12_GLOBAL__N_17runRingI12hip_bfloat167FuncSumIS1_E11ProtoSimpleILi1ELi1ELi0ELi4ELi0ELi0EELi0ELi4ELi1EEEviiP15ncclDevWorkColl
; %bb.0:
	s_waitcnt vmcnt(0) expcnt(0) lgkmcnt(0)
	s_mov_b32 s4, s33
	s_mov_b32 s33, s32
	s_or_saveexec_b64 s[6:7], -1
	buffer_store_dword v63, off, s[0:3], s33 offset:576 ; 4-byte Folded Spill
	s_mov_b64 exec, s[6:7]
	v_writelane_b32 v63, s4, 12
	s_add_i32 s32, s32, 0x9400
	buffer_store_dword v40, off, s[0:3], s33 offset:56 ; 4-byte Folded Spill
	buffer_store_dword v41, off, s[0:3], s33 offset:52 ; 4-byte Folded Spill
	;; [unrolled: 1-line block ×14, first 2 shown]
	buffer_store_dword v62, off, s[0:3], s33 ; 4-byte Folded Spill
	v_writelane_b32 v63, s34, 0
	v_writelane_b32 v63, s35, 1
	;; [unrolled: 1-line block ×12, first 2 shown]
	buffer_store_dword v31, off, s[0:3], s33 offset:444 ; 4-byte Folded Spill
	buffer_store_dword v1, off, s[0:3], s33 offset:408 ; 4-byte Folded Spill
	s_trap 2
	ds_read_b64 v[8:9], v0
	ds_read_b32 v6, v0
                                        ; implicit-def: $vgpr16_vgpr17
	s_waitcnt lgkmcnt(1)
	v_ashrrev_i32_e32 v5, 31, v9
	v_mov_b32_e32 v4, v9
	v_lshlrev_b64 v[4:5], 2, v[4:5]
	v_add_co_u32_e32 v1, vcc, v8, v4
	v_addc_co_u32_e32 v7, vcc, v9, v5, vcc
	v_add_co_u32_e32 v11, vcc, -4, v1
	flat_load_ushort v10, v[2:3] offset:8
	flat_load_dwordx2 v[4:5], v[2:3]
	v_addc_co_u32_e32 v12, vcc, -1, v7, vcc
	flat_load_dword v15, v[11:12]
                                        ; implicit-def: $vgpr11_vgpr12
                                        ; implicit-def: $vgpr12_vgpr13
                                        ; kill: killed $vgpr12_vgpr13
	s_waitcnt vmcnt(0) lgkmcnt(0)
	v_mov_b32_e32 v9, v5
	v_cmp_ne_u32_sdwa s[4:5], v6, v4 src0_sel:DWORD src1_sel:BYTE_0
	s_and_saveexec_b64 s[6:7], s[4:5]
	s_xor_b64 s[4:5], exec, s[6:7]
	s_cbranch_execz .LBB12_6
; %bb.1:
	v_not_b32_sdwa v1, v4 dst_sel:DWORD dst_unused:UNUSED_PAD src0_sel:BYTE_0
	v_cmp_ne_u32_sdwa s[6:7], v6, v4 src0_sel:DWORD src1_sel:BYTE_1
                                        ; implicit-def: $vgpr11_vgpr12
                                        ; implicit-def: $vgpr16_vgpr17
                                        ; implicit-def: $vgpr12_vgpr13
                                        ; kill: killed $vgpr12_vgpr13
	s_and_saveexec_b64 s[10:11], s[6:7]
	s_xor_b64 s[6:7], exec, s[10:11]
	s_cbranch_execz .LBB12_3
; %bb.2:
	flat_load_dwordx4 v[11:14], v[2:3] offset:72
	flat_load_dwordx2 v[4:5], v[2:3] offset:96
	v_add_u32_e32 v1, v6, v1
	v_ashrrev_i32_e32 v6, 31, v1
	s_waitcnt vmcnt(0) lgkmcnt(0)
	v_mul_lo_u32 v6, v13, v6
	v_mad_u64_u32 v[16:17], s[10:11], v13, v1, v[11:12]
	v_mul_lo_u32 v1, v14, v1
	v_lshrrev_b64 v[11:12], 13, v[4:5]
                                        ; implicit-def: $vgpr4
	v_add3_u32 v17, v1, v17, v6
	buffer_store_dword v16, off, s[0:3], s33 offset:400 ; 4-byte Folded Spill
	s_nop 0
	buffer_store_dword v17, off, s[0:3], s33 offset:404 ; 4-byte Folded Spill
	v_mov_b32_e32 v17, v14
	v_mov_b32_e32 v16, v13
                                        ; implicit-def: $vgpr1
.LBB12_3:
	s_andn2_saveexec_b64 s[6:7], s[6:7]
	s_cbranch_execz .LBB12_5
; %bb.4:
	flat_load_dwordx4 v[11:14], v[2:3] offset:72
	flat_load_dwordx4 v[16:19], v[2:3] offset:88
	v_add_u32_sdwa v1, v4, v1 dst_sel:DWORD dst_unused:UNUSED_PAD src0_sel:BYTE_1 src1_sel:DWORD
	v_ashrrev_i32_e32 v4, 31, v1
	s_waitcnt vmcnt(0) lgkmcnt(0)
	v_mul_lo_u32 v4, v13, v4
	v_mad_u64_u32 v[5:6], s[10:11], v13, v1, v[11:12]
	v_mul_lo_u32 v1, v14, v1
	v_lshrrev_b32_e32 v11, 2, v19
	v_add3_u32 v6, v1, v6, v4
	buffer_store_dword v5, off, s[0:3], s33 offset:400 ; 4-byte Folded Spill
	s_nop 0
	buffer_store_dword v6, off, s[0:3], s33 offset:404 ; 4-byte Folded Spill
.LBB12_5:
	s_or_b64 exec, exec, s[6:7]
.LBB12_6:
	s_andn2_saveexec_b64 s[4:5], s[4:5]
	s_cbranch_execz .LBB12_8
; %bb.7:
	flat_load_dwordx2 v[4:5], v[2:3] offset:96
	flat_load_dwordx2 v[16:17], v[2:3] offset:72
	s_waitcnt vmcnt(0) lgkmcnt(0)
	v_lshlrev_b64 v[11:12], 8, v[4:5]
	v_mov_b32_e32 v4, 0
	v_mov_b32_e32 v5, 0
	buffer_store_dword v4, off, s[0:3], s33 offset:400 ; 4-byte Folded Spill
	s_nop 0
	buffer_store_dword v5, off, s[0:3], s33 offset:404 ; 4-byte Folded Spill
.LBB12_8:
	s_or_b64 exec, exec, s[4:5]
	s_trap 2
	ds_read_b64 v[4:5], v0
	s_waitcnt lgkmcnt(0)
	v_cmp_ne_u32_e32 vcc, -1, v4
	v_cndmask_b32_e64 v14, 0, 1, vcc
	v_cmp_ne_u32_e32 vcc, -1, v5
	buffer_load_dword v5, off, s[0:3], s33 offset:408 ; 4-byte Folded Reload
	v_addc_co_u32_e64 v1, s[4:5], 0, v14, vcc
	v_lshlrev_b32_e32 v4, 1, v1
	s_waitcnt vmcnt(0)
	v_cmp_le_u32_e64 s[4:5], v4, v5
	s_and_saveexec_b64 s[6:7], s[4:5]
	s_xor_b64 s[24:25], exec, s[6:7]
	s_cbranch_execz .LBB12_2076
; %bb.9:
	buffer_store_dword v16, off, s[0:3], s33 offset:264 ; 4-byte Folded Spill
	s_nop 0
	buffer_store_dword v17, off, s[0:3], s33 offset:268 ; 4-byte Folded Spill
	buffer_store_dword v18, off, s[0:3], s33 offset:272 ; 4-byte Folded Spill
	;; [unrolled: 1-line block ×3, first 2 shown]
	flat_load_dwordx4 v[4:7], v[2:3] offset:16
	flat_load_dwordx2 v[12:13], v[2:3] offset:104
	s_trap 2
	s_load_dword s4, s[8:9], 0x0
	v_mov_b32_e32 v2, 0
	v_mov_b32_e32 v53, 4
	s_waitcnt lgkmcnt(0)
	s_cmp_lt_u32 s12, s4
	s_cselect_b32 s4, 12, 18
	s_add_u32 s4, s8, s4
	s_addc_u32 s5, s9, 0
	global_load_ushort v2, v2, s[4:5]
	v_cmp_ge_i32_e64 s[4:5], v0, v14
	s_waitcnt vmcnt(0)
	buffer_store_dword v2, off, s[0:3], s33 offset:460 ; 4-byte Folded Spill
	ds_read_b32 v2, v0
	s_waitcnt lgkmcnt(0)
	v_readfirstlane_b32 s12, v2
	s_and_saveexec_b64 s[6:7], s[4:5]
	s_cbranch_execz .LBB12_19
; %bb.10:
	v_cmp_ge_u32_e64 s[4:5], v0, v1
                                        ; implicit-def: $vgpr53
	s_and_saveexec_b64 s[10:11], s[4:5]
	s_xor_b64 s[4:5], exec, s[10:11]
	s_cbranch_execz .LBB12_16
; %bb.11:
	buffer_load_dword v3, off, s[0:3], s33 offset:408 ; 4-byte Folded Reload
	v_cndmask_b32_e64 v2, 0, 1, vcc
	s_waitcnt vmcnt(0)
	v_sub_u32_e32 v2, v3, v2
	v_cmp_ge_u32_e32 vcc, v0, v2
	s_and_saveexec_b64 s[10:11], vcc
	s_xor_b64 s[10:11], exec, s[10:11]
; %bb.12:
                                        ; implicit-def: $vgpr1
; %bb.13:
	s_or_saveexec_b64 s[10:11], s[10:11]
	v_mov_b32_e32 v53, 16
	s_xor_b64 exec, exec, s[10:11]
	s_cbranch_execz .LBB12_15
; %bb.14:
	buffer_load_dword v2, off, s[0:3], s33 offset:408 ; 4-byte Folded Reload
	s_waitcnt vmcnt(0)
	v_sub_u32_e32 v1, v2, v1
	v_cmp_lt_i32_e32 vcc, v0, v1
	v_cndmask_b32_e64 v53, 32, 0, vcc
.LBB12_15:
	s_or_b64 exec, exec, s[10:11]
.LBB12_16:
	s_andn2_saveexec_b64 s[4:5], s[4:5]
; %bb.17:
	v_mov_b32_e32 v53, 8
; %bb.18:
	s_or_b64 exec, exec, s[4:5]
.LBB12_19:
	s_or_b64 exec, exec, s[6:7]
	v_and_b32_e32 v1, 36, v53
	v_cmp_ne_u32_e32 vcc, 0, v1
	v_mov_b32_e32 v1, -1
	s_and_saveexec_b64 s[4:5], vcc
	s_cbranch_execz .LBB12_21
; %bb.20:
	s_trap 2
	ds_read_b32 v1, v0
.LBB12_21:
	s_or_b64 exec, exec, s[4:5]
	v_and_b32_e32 v2, 24, v53
	v_cmp_ne_u32_e64 s[4:5], 0, v2
	s_and_saveexec_b64 s[6:7], s[4:5]
	s_cbranch_execz .LBB12_23
; %bb.22:
	s_trap 2
	s_waitcnt lgkmcnt(0)
	ds_read_b32 v1, v0
.LBB12_23:
	s_or_b64 exec, exec, s[6:7]
	v_lshrrev_b64 v[2:3], 31, v[9:10]
	v_mov_b32_e32 v16, 0
	v_mov_b32_e32 v17, 0
	v_and_b32_e32 v10, 3, v2
                                        ; implicit-def: $vgpr2_vgpr3
	buffer_store_dword v16, off, s[0:3], s33 offset:436 ; 4-byte Folded Spill
	s_nop 0
	buffer_store_dword v17, off, s[0:3], s33 offset:440 ; 4-byte Folded Spill
                                        ; kill: killed $vgpr2_vgpr3
                                        ; implicit-def: $vgpr2
	v_mov_b32_e32 v16, 0
                                        ; kill: killed $vgpr2
                                        ; implicit-def: $vgpr2_vgpr3
	v_mov_b32_e32 v17, 0
                                        ; kill: killed $vgpr2_vgpr3
                                        ; implicit-def: $vgpr2_vgpr3
	buffer_store_dword v16, off, s[0:3], s33 offset:144 ; 4-byte Folded Spill
	s_nop 0
	buffer_store_dword v17, off, s[0:3], s33 offset:148 ; 4-byte Folded Spill
	buffer_store_dword v18, off, s[0:3], s33 offset:152 ; 4-byte Folded Spill
	;; [unrolled: 1-line block ×3, first 2 shown]
                                        ; kill: killed $vgpr2_vgpr3
                                        ; implicit-def: $vgpr2_vgpr3
                                        ; kill: killed $vgpr2_vgpr3
	s_and_saveexec_b64 s[4:5], vcc
	s_cbranch_execz .LBB12_33
; %bb.24:
	s_trap 2
	ds_read_b64 v[16:17], v0
	s_waitcnt lgkmcnt(1)
	v_ashrrev_i32_e32 v2, 31, v1
	v_lshlrev_b64 v[2:3], 3, v[1:2]
	s_movk_i32 s6, 0xa8
	s_waitcnt lgkmcnt(0)
	v_add_co_u32_e32 v2, vcc, v16, v2
	v_addc_co_u32_e32 v3, vcc, v17, v3, vcc
	flat_load_dwordx2 v[2:3], v[2:3]
	v_and_b32_e32 v16, 0xffff, v10
	s_waitcnt vmcnt(0) lgkmcnt(0)
	v_mad_u64_u32 v[2:3], s[6:7], v16, s6, v[2:3]
	flat_load_dword v16, v[2:3] offset:640
	s_waitcnt vmcnt(0) lgkmcnt(0)
	v_cmp_eq_u32_e32 vcc, 1, v16
                                        ; implicit-def: $vgpr16_vgpr17
                                        ; kill: killed $vgpr16_vgpr17
	s_and_saveexec_b64 s[6:7], vcc
	s_cbranch_execz .LBB12_26
; %bb.25:
	flat_load_dwordx2 v[18:19], v[2:3] offset:648
	v_or_b32_e32 v53, 0x2000, v53
	s_waitcnt vmcnt(0) lgkmcnt(0)
	flat_load_dwordx2 v[16:17], v[18:19]
	s_trap 2
	s_waitcnt vmcnt(0) lgkmcnt(0)
	ds_write_b64 v0, v[16:17]
	flat_load_dwordx2 v[16:17], v[18:19] offset:8
	s_waitcnt vmcnt(0) lgkmcnt(0)
	ds_write_b64 v0, v[16:17]
	buffer_store_dword v18, off, s[0:3], s33 offset:568 ; 4-byte Folded Spill
	s_nop 0
	buffer_store_dword v19, off, s[0:3], s33 offset:572 ; 4-byte Folded Spill
	flat_load_dwordx2 v[16:17], v[18:19] offset:16
	s_waitcnt vmcnt(0) lgkmcnt(0)
	ds_write_b64 v0, v[16:17]
.LBB12_26:
	s_or_b64 exec, exec, s[6:7]
	flat_load_dwordx2 v[19:20], v[2:3] offset:608
	v_and_b32_e32 v16, 32, v53
	v_cmp_ne_u32_e32 vcc, 0, v16
                                        ; implicit-def: $vgpr16_vgpr17
                                        ; kill: killed $vgpr16_vgpr17
	s_and_saveexec_b64 s[6:7], vcc
	s_cbranch_execz .LBB12_28
; %bb.27:
	flat_load_dwordx2 v[16:17], v[2:3] offset:560
	s_waitcnt vmcnt(0) lgkmcnt(0)
	buffer_store_dword v16, off, s[0:3], s33 offset:136 ; 4-byte Folded Spill
	s_nop 0
	buffer_store_dword v17, off, s[0:3], s33 offset:140 ; 4-byte Folded Spill
	flat_store_dwordx2 v[16:17], v[19:20]
.LBB12_28:
	s_or_b64 exec, exec, s[6:7]
	v_add_co_u32_e32 v16, vcc, 0x1f8, v2
	v_addc_co_u32_e32 v17, vcc, 0, v3, vcc
	buffer_store_dword v16, off, s[0:3], s33 offset:436 ; 4-byte Folded Spill
	s_nop 0
	buffer_store_dword v17, off, s[0:3], s33 offset:440 ; 4-byte Folded Spill
	v_mov_b32_e32 v17, 0
	v_and_b32_e32 v16, 4, v53
	v_mov_b32_e32 v18, 0
	buffer_store_dword v17, off, s[0:3], s33 offset:144 ; 4-byte Folded Spill
	s_nop 0
	buffer_store_dword v18, off, s[0:3], s33 offset:148 ; 4-byte Folded Spill
	s_waitcnt vmcnt(0) lgkmcnt(0)
	buffer_store_dword v19, off, s[0:3], s33 offset:152 ; 4-byte Folded Spill
	buffer_store_dword v20, off, s[0:3], s33 offset:156 ; 4-byte Folded Spill
	v_cmp_ne_u32_e32 vcc, 0, v16
                                        ; implicit-def: $vgpr16
                                        ; kill: killed $vgpr16
                                        ; implicit-def: $vgpr16_vgpr17
                                        ; kill: killed $vgpr16_vgpr17
                                        ; implicit-def: $vgpr16_vgpr17
                                        ; kill: killed $vgpr16_vgpr17
	s_and_saveexec_b64 s[6:7], vcc
	s_cbranch_execz .LBB12_32
; %bb.29:
	v_and_b32_e32 v16, 0x800, v53
	v_cmp_eq_u32_e32 vcc, 0, v16
	s_and_saveexec_b64 s[10:11], vcc
	s_cbranch_execz .LBB12_31
; %bb.30:
	s_trap 2
	buffer_load_dword v16, off, s[0:3], s33 offset:436 ; 4-byte Folded Reload
	buffer_load_dword v17, off, s[0:3], s33 offset:440 ; 4-byte Folded Reload
	s_waitcnt vmcnt(0)
	ds_write_b64 v0, v[16:17]
.LBB12_31:
	s_or_b64 exec, exec, s[10:11]
	flat_load_dwordx2 v[16:17], v[2:3] offset:552
	s_waitcnt vmcnt(0) lgkmcnt(0)
	buffer_store_dword v16, off, s[0:3], s33 offset:136 ; 4-byte Folded Spill
	s_nop 0
	buffer_store_dword v17, off, s[0:3], s33 offset:140 ; 4-byte Folded Spill
	flat_load_dwordx2 v[16:17], v[16:17] glc
	s_waitcnt vmcnt(0) lgkmcnt(0)
	buffer_store_dword v16, off, s[0:3], s33 offset:128 ; 4-byte Folded Spill
	s_nop 0
	buffer_store_dword v17, off, s[0:3], s33 offset:132 ; 4-byte Folded Spill
	flat_load_dword v16, v[2:3] offset:576
	s_nop 0
	buffer_load_dword v17, off, s[0:3], s33 offset:144 ; 4-byte Folded Reload
	buffer_load_dword v18, off, s[0:3], s33 offset:148 ; 4-byte Folded Reload
	;; [unrolled: 1-line block ×4, first 2 shown]
	s_waitcnt vmcnt(0)
	flat_load_dwordx2 v[17:18], v[2:3] offset:600
	s_nop 0
	flat_load_dwordx2 v[2:3], v[2:3] offset:520
	s_waitcnt vmcnt(0) lgkmcnt(0)
	buffer_store_dword v2, off, s[0:3], s33 offset:320 ; 4-byte Folded Spill
	s_nop 0
	buffer_store_dword v3, off, s[0:3], s33 offset:324 ; 4-byte Folded Spill
	v_ashrrev_i32_e32 v3, 1, v16
	buffer_store_dword v3, off, s[0:3], s33 offset:412 ; 4-byte Folded Spill
	buffer_store_dword v17, off, s[0:3], s33 offset:144 ; 4-byte Folded Spill
	s_nop 0
	buffer_store_dword v18, off, s[0:3], s33 offset:148 ; 4-byte Folded Spill
	buffer_store_dword v19, off, s[0:3], s33 offset:152 ; 4-byte Folded Spill
	buffer_store_dword v20, off, s[0:3], s33 offset:156 ; 4-byte Folded Spill
	v_or_b32_e32 v2, 0x100, v53
	v_cmp_eq_u64_e32 vcc, 0, v[17:18]
	v_cndmask_b32_e32 v53, v2, v53, vcc
.LBB12_32:
	s_or_b64 exec, exec, s[6:7]
.LBB12_33:
	s_or_b64 exec, exec, s[4:5]
	v_and_b32_e32 v2, 24, v53
	v_cmp_ne_u32_e32 vcc, 0, v2
                                        ; implicit-def: $vgpr2_vgpr3
                                        ; kill: killed $vgpr2_vgpr3
	s_and_saveexec_b64 s[4:5], vcc
	s_cbranch_execz .LBB12_41
; %bb.34:
	s_trap 2
	ds_read_b64 v[16:17], v0
	s_waitcnt lgkmcnt(1)
	v_ashrrev_i32_e32 v2, 31, v1
	v_lshlrev_b64 v[1:2], 3, v[1:2]
	v_and_b32_e32 v3, 0xffff, v10
	s_movk_i32 s6, 0xa8
	s_waitcnt lgkmcnt(0)
	v_add_co_u32_e32 v1, vcc, v16, v1
	v_addc_co_u32_e32 v2, vcc, v17, v2, vcc
	flat_load_dwordx2 v[1:2], v[1:2]
	s_waitcnt vmcnt(0) lgkmcnt(0)
	v_mad_u64_u32 v[1:2], s[6:7], v3, s6, v[1:2]
	buffer_store_dword v1, off, s[0:3], s33 offset:436 ; 4-byte Folded Spill
	s_nop 0
	buffer_store_dword v2, off, s[0:3], s33 offset:440 ; 4-byte Folded Spill
	flat_load_dwordx4 v[16:19], v[1:2] offset:96
	v_or_b32_e32 v1, 0x100, v53
	s_waitcnt vmcnt(0) lgkmcnt(0)
	buffer_store_dword v16, off, s[0:3], s33 offset:144 ; 4-byte Folded Spill
	s_nop 0
	buffer_store_dword v17, off, s[0:3], s33 offset:148 ; 4-byte Folded Spill
	buffer_store_dword v18, off, s[0:3], s33 offset:152 ; 4-byte Folded Spill
	;; [unrolled: 1-line block ×3, first 2 shown]
	v_cmp_eq_u64_e32 vcc, 0, v[16:17]
	v_cndmask_b32_e32 v53, v1, v53, vcc
	v_and_b32_e32 v1, 16, v53
	v_cmp_ne_u32_e32 vcc, 0, v1
                                        ; implicit-def: $vgpr1_vgpr2
                                        ; kill: killed $vgpr1_vgpr2
	s_and_saveexec_b64 s[6:7], vcc
	s_cbranch_execz .LBB12_36
; %bb.35:
	buffer_load_dword v1, off, s[0:3], s33 offset:436 ; 4-byte Folded Reload
	buffer_load_dword v2, off, s[0:3], s33 offset:440 ; 4-byte Folded Reload
	s_waitcnt vmcnt(0)
	flat_load_dwordx2 v[16:17], v[1:2] offset:48
	s_waitcnt vmcnt(0) lgkmcnt(0)
	buffer_store_dword v16, off, s[0:3], s33 offset:136 ; 4-byte Folded Spill
	s_nop 0
	buffer_store_dword v17, off, s[0:3], s33 offset:140 ; 4-byte Folded Spill
	flat_load_dwordx2 v[16:17], v[1:2] offset:120
	s_waitcnt vmcnt(0) lgkmcnt(0)
	buffer_store_dword v16, off, s[0:3], s33 offset:416 ; 4-byte Folded Spill
	s_nop 0
	buffer_store_dword v17, off, s[0:3], s33 offset:420 ; 4-byte Folded Spill
	;; [unrolled: 5-line block ×3, first 2 shown]
.LBB12_36:
	s_or_b64 exec, exec, s[6:7]
	v_and_b32_e32 v1, 8, v53
	v_cmp_ne_u32_e32 vcc, 0, v1
	s_and_saveexec_b64 s[6:7], vcc
	s_cbranch_execz .LBB12_40
; %bb.37:
	v_and_b32_e32 v1, 0x800, v53
	v_cmp_eq_u32_e32 vcc, 0, v1
	s_and_saveexec_b64 s[10:11], vcc
	s_cbranch_execz .LBB12_39
; %bb.38:
	s_trap 2
	buffer_load_dword v1, off, s[0:3], s33 offset:436 ; 4-byte Folded Reload
	buffer_load_dword v2, off, s[0:3], s33 offset:440 ; 4-byte Folded Reload
	s_waitcnt vmcnt(0)
	ds_write_b64 v0, v[1:2]
.LBB12_39:
	s_or_b64 exec, exec, s[10:11]
	buffer_load_dword v2, off, s[0:3], s33 offset:436 ; 4-byte Folded Reload
	buffer_load_dword v3, off, s[0:3], s33 offset:440 ; 4-byte Folded Reload
	s_waitcnt vmcnt(0)
	flat_load_dwordx2 v[16:17], v[2:3] offset:56
	s_waitcnt vmcnt(0) lgkmcnt(0)
	buffer_store_dword v16, off, s[0:3], s33 offset:136 ; 4-byte Folded Spill
	s_nop 0
	buffer_store_dword v17, off, s[0:3], s33 offset:140 ; 4-byte Folded Spill
	flat_load_dwordx2 v[16:17], v[16:17] glc
	s_waitcnt vmcnt(0) lgkmcnt(0)
	buffer_store_dword v16, off, s[0:3], s33 offset:128 ; 4-byte Folded Spill
	s_nop 0
	buffer_store_dword v17, off, s[0:3], s33 offset:132 ; 4-byte Folded Spill
	flat_load_dword v1, v[2:3] offset:72
	s_nop 0
	flat_load_dwordx2 v[2:3], v[2:3] offset:16
	s_waitcnt vmcnt(0) lgkmcnt(0)
	buffer_store_dword v2, off, s[0:3], s33 offset:320 ; 4-byte Folded Spill
	s_nop 0
	buffer_store_dword v3, off, s[0:3], s33 offset:324 ; 4-byte Folded Spill
	v_ashrrev_i32_e32 v1, 1, v1
	buffer_store_dword v1, off, s[0:3], s33 offset:412 ; 4-byte Folded Spill
.LBB12_40:
	s_or_b64 exec, exec, s[6:7]
.LBB12_41:
	s_or_b64 exec, exec, s[4:5]
	v_cmp_eq_u32_e64 s[4:5], 0, v0
	s_and_saveexec_b64 s[6:7], s[4:5]
	s_cbranch_execz .LBB12_43
; %bb.42:
	s_waitcnt lgkmcnt(0)
	v_mov_b32_e32 v1, v6
	v_mov_b32_e32 v2, v7
	;; [unrolled: 1-line block ×4, first 2 shown]
	ds_write2_b64 v0, v[1:2], v[3:4] offset1:1
	v_mov_b32_e32 v1, 0
	v_mov_b32_e32 v2, v1
	s_trap 2
	ds_write_b64 v0, v[1:2]
	ds_write_b64 v0, v[12:13]
.LBB12_43:
	s_or_b64 exec, exec, s[6:7]
	s_waitcnt lgkmcnt(0)
	v_and_b32_e32 v1, 0x1fffff00, v11
	v_mov_b32_e32 v2, 0
	s_ashr_i32 s6, s12, 31
	buffer_store_dword v1, off, s[0:3], s33 offset:280 ; 4-byte Folded Spill
	s_nop 0
	buffer_store_dword v2, off, s[0:3], s33 offset:284 ; 4-byte Folded Spill
	s_lshr_b32 s6, s6, 29
	s_add_i32 s12, s12, s6
	v_bfe_u32 v1, v9, 1, 30
	s_ashr_i32 s30, s12, 4
	v_cmp_ne_u32_e32 vcc, v15, v1
                                        ; implicit-def: $vgpr2_vgpr3
                                        ; kill: killed $vgpr2_vgpr3
	s_and_saveexec_b64 s[6:7], vcc
	s_xor_b64 s[26:27], exec, s[6:7]
	s_cbranch_execz .LBB12_1839
; %bb.44:
	v_cmp_ne_u32_e32 vcc, v8, v1
                                        ; implicit-def: $vgpr1_vgpr2
                                        ; kill: killed $vgpr1_vgpr2
	s_and_saveexec_b64 s[6:7], vcc
	s_xor_b64 s[28:29], exec, s[6:7]
	s_cbranch_execz .LBB12_947
; %bb.45:
	v_mov_b32_e32 v1, 0
	v_mov_b32_e32 v2, 0
	buffer_store_dword v1, off, s[0:3], s33 offset:160 ; 4-byte Folded Spill
	s_nop 0
	buffer_store_dword v2, off, s[0:3], s33 offset:164 ; 4-byte Folded Spill
	buffer_load_dword v1, off, s[0:3], s33 offset:264 ; 4-byte Folded Reload
	s_nop 0
	buffer_load_dword v2, off, s[0:3], s33 offset:268 ; 4-byte Folded Reload
	buffer_load_dword v3, off, s[0:3], s33 offset:272 ; 4-byte Folded Reload
	;; [unrolled: 1-line block ×3, first 2 shown]
	s_waitcnt vmcnt(2)
	v_cmp_ne_u64_e32 vcc, 0, v[1:2]
	s_and_saveexec_b64 s[40:41], vcc
	s_cbranch_execz .LBB12_946
; %bb.46:
	s_trap 2
	buffer_load_dword v2, off, s[0:3], s33 offset:408 ; 4-byte Folded Reload
	buffer_load_dword v1, off, s[0:3], s33 offset:412 ; 4-byte Folded Reload
	s_lshr_b32 s6, s30, 27
	s_add_i32 s6, s30, s6
	s_ashr_i32 s31, s6, 5
	s_movk_i32 s34, 0x1000
	s_movk_i32 s37, 0x400
	;; [unrolled: 1-line block ×3, first 2 shown]
	v_mov_b32_e32 v48, 0
	v_mov_b32_e32 v30, 0
	s_mov_b64 s[44:45], 0
	v_mov_b32_e32 v49, 0
	s_movk_i32 s39, 0x108
	v_mov_b32_e32 v51, 1
	s_mov_b32 s48, 0x7f800000
	s_movk_i32 s49, 0x7fff
	s_mov_b32 s50, 0xffff0000
	v_mov_b32_e32 v52, 0xc8
	v_mov_b32_e32 v54, 0x90
	s_waitcnt vmcnt(1)
	v_cmp_ge_i32_e64 s[6:7], v0, v2
	s_waitcnt vmcnt(0)
	v_ashrrev_i32_e32 v50, 31, v1
	buffer_load_dword v1, off, s[0:3], s33 offset:460 ; 4-byte Folded Reload
	v_cmp_eq_u32_e32 vcc, 64, v2
	v_cmp_ne_u32_e64 s[10:11], 64, v2
	v_lshrrev_b32_e32 v3, 6, v2
	v_lshlrev_b32_e32 v43, 10, v3
	v_add_u32_e32 v45, 0xfffffc00, v43
	v_ashrrev_i32_e32 v46, 31, v45
	v_lshlrev_b32_e32 v61, 7, v3
	s_xor_b64 s[46:47], vcc, -1
	s_waitcnt vmcnt(0)
	v_cmp_ne_u32_sdwa s[42:43], v2, v1 src0_sel:DWORD src1_sel:WORD_0
	buffer_load_dword v1, off, s[0:3], s33 offset:444 ; 4-byte Folded Reload
	s_waitcnt vmcnt(0)
	v_and_b32_e32 v1, 63, v1
	v_cmp_eq_u32_e64 s[12:13], 0, v1
	v_ashrrev_i32_e32 v1, 31, v0
	v_lshrrev_b32_e32 v1, 26, v1
	v_add_u32_e32 v1, v0, v1
	v_and_b32_e32 v2, 0xffffffc0, v1
	v_sub_u32_e32 v0, v0, v2
	v_cmp_le_i32_e64 s[14:15], v0, v14
	v_cmp_lt_i32_e64 s[16:17], v0, v14
	v_ashrrev_i32_e32 v40, 6, v1
	buffer_store_dword v0, off, s[0:3], s33 offset:508 ; 4-byte Folded Spill
	v_lshlrev_b32_e32 v0, 4, v0
	v_lshl_add_u32 v0, v40, 12, v0
	buffer_store_dword v0, off, s[0:3], s33 offset:512 ; 4-byte Folded Spill
	v_ashrrev_i32_e32 v0, 31, v0
	buffer_store_dword v0, off, s[0:3], s33 offset:516 ; 4-byte Folded Spill
	v_mov_b32_e32 v0, 0xfffff000
	v_lshl_add_u32 v0, v3, 12, v0
	v_ashrrev_i32_e32 v1, 31, v0
	buffer_store_dword v0, off, s[0:3], s33 offset:424 ; 4-byte Folded Spill
	v_add_co_u32_e64 v0, s[18:19], s34, v0
	buffer_store_dword v0, off, s[0:3], s33 offset:304 ; 4-byte Folded Spill
	buffer_store_dword v1, off, s[0:3], s33 offset:428 ; 4-byte Folded Spill
	v_addc_co_u32_e64 v0, s[18:19], 0, v1, s[18:19]
	buffer_store_dword v0, off, s[0:3], s33 offset:312 ; 4-byte Folded Spill
	buffer_load_dword v0, off, s[0:3], s33 offset:416 ; 4-byte Folded Reload
	s_nop 0
	buffer_load_dword v1, off, s[0:3], s33 offset:420 ; 4-byte Folded Reload
	s_lshr_b32 s18, s33, 6
	s_add_i32 s35, s18, 0x70
	s_lshr_b32 s18, s33, 6
	s_add_i32 s36, s18, 0x50
	v_add_co_u32_e64 v47, s[18:19], s37, v45
	v_addc_co_u32_e64 v60, s[18:19], 0, v46, s[18:19]
	s_waitcnt vmcnt(0)
	v_cmp_eq_u64_e64 s[18:19], 0, v[0:1]
	v_mov_b32_e32 v0, 0xfffff800
	v_lshl_add_u32 v0, v3, 11, v0
	v_ashrrev_i32_e32 v1, 31, v0
	buffer_store_dword v0, off, s[0:3], s33 offset:360 ; 4-byte Folded Spill
	v_add_co_u32_e64 v0, s[20:21], s38, v0
	buffer_store_dword v0, off, s[0:3], s33 offset:288 ; 4-byte Folded Spill
	buffer_store_dword v1, off, s[0:3], s33 offset:364 ; 4-byte Folded Spill
	v_addc_co_u32_e64 v0, s[20:21], 0, v1, s[20:21]
	buffer_store_dword v0, off, s[0:3], s33 offset:296 ; 4-byte Folded Spill
	buffer_store_dword v3, off, s[0:3], s33 offset:232 ; 4-byte Folded Spill
	v_add_u32_e32 v0, 0xffffff80, v61
	s_movk_i32 s20, 0x80
	buffer_store_dword v0, off, s[0:3], s33 offset:552 ; 4-byte Folded Spill
	v_ashrrev_i32_e32 v1, 31, v0
	v_add_co_u32_e64 v0, s[20:21], s20, v0
	buffer_store_dword v0, off, s[0:3], s33 offset:560 ; 4-byte Folded Spill
	v_addc_co_u32_e64 v0, s[20:21], 0, v1, s[20:21]
	buffer_store_dword v1, off, s[0:3], s33 offset:556 ; 4-byte Folded Spill
	buffer_store_dword v0, off, s[0:3], s33 offset:564 ; 4-byte Folded Spill
	v_mov_b32_e32 v0, 0
	v_mov_b32_e32 v1, 0
	buffer_store_dword v0, off, s[0:3], s33 offset:160 ; 4-byte Folded Spill
	s_nop 0
	buffer_store_dword v1, off, s[0:3], s33 offset:164 ; 4-byte Folded Spill
	buffer_load_dword v0, off, s[0:3], s33 offset:264 ; 4-byte Folded Reload
	s_nop 0
	buffer_load_dword v1, off, s[0:3], s33 offset:268 ; 4-byte Folded Reload
	buffer_load_dword v2, off, s[0:3], s33 offset:272 ; 4-byte Folded Reload
	;; [unrolled: 1-line block ×5, first 2 shown]
	s_nop 0
	buffer_store_dword v50, off, s[0:3], s33 offset:520 ; 4-byte Folded Spill
	buffer_store_dword v40, off, s[0:3], s33 offset:524 ; 4-byte Folded Spill
	;; [unrolled: 1-line block ×8, first 2 shown]
	s_branch .LBB12_49
.LBB12_47:                              ;   in Loop: Header=BB12_49 Depth=1
	s_or_b64 exec, exec, s[20:21]
.LBB12_48:                              ;   in Loop: Header=BB12_49 Depth=1
	s_or_b64 exec, exec, s[22:23]
	buffer_load_dword v4, off, s[0:3], s33 offset:280 ; 4-byte Folded Reload
	buffer_load_dword v5, off, s[0:3], s33 offset:284 ; 4-byte Folded Reload
	;; [unrolled: 1-line block ×6, first 2 shown]
	s_waitcnt vmcnt(0)
	v_add_co_u32_e32 v48, vcc, v48, v4
	v_addc_co_u32_e32 v49, vcc, 0, v49, vcc
	v_cmp_ge_u64_e32 vcc, v[48:49], v[0:1]
	s_or_b64 s[44:45], vcc, s[44:45]
	s_andn2_b64 exec, exec, s[44:45]
	s_cbranch_execz .LBB12_945
.LBB12_49:                              ; =>This Loop Header: Depth=1
                                        ;     Child Loop BB12_58 Depth 2
                                        ;     Child Loop BB12_86 Depth 2
	;; [unrolled: 1-line block ×5, first 2 shown]
                                        ;       Child Loop BB12_529 Depth 3
                                        ;       Child Loop BB12_566 Depth 3
                                        ;     Child Loop BB12_643 Depth 2
                                        ;     Child Loop BB12_846 Depth 2
                                        ;       Child Loop BB12_847 Depth 3
                                        ;       Child Loop BB12_856 Depth 3
                                        ;     Child Loop BB12_875 Depth 2
                                        ;     Child Loop BB12_900 Depth 2
	;; [unrolled: 1-line block ×3, first 2 shown]
	s_waitcnt vmcnt(0)
	v_sub_co_u32_e32 v0, vcc, v0, v48
	s_waitcnt vmcnt(12)
	v_subb_co_u32_e32 v1, vcc, v1, v49, vcc
	s_waitcnt vmcnt(8)
	v_cmp_lt_u64_e32 vcc, v[4:5], v[0:1]
	v_cndmask_b32_e64 v42, v1, 0, vcc
	v_cndmask_b32_e32 v41, v0, v4, vcc
	v_cmp_eq_u64_e32 vcc, 0, v[41:42]
	v_add_u32_e32 v0, 15, v41
	v_and_b32_e32 v0, 0x3ffffff0, v0
	s_or_b64 s[56:57], s[6:7], vcc
	v_max_i32_e32 v55, s31, v0
	s_xor_b64 s[20:21], s[56:57], -1
	v_mov_b32_e32 v0, 0
	s_and_saveexec_b64 s[58:59], s[20:21]
	s_cbranch_execz .LBB12_893
; %bb.50:                               ;   in Loop: Header=BB12_49 Depth=1
	s_and_saveexec_b64 s[20:21], s[4:5]
	s_cbranch_execz .LBB12_52
; %bb.51:                               ;   in Loop: Header=BB12_49 Depth=1
	s_trap 2
	ds_read_b64 v[0:1], v0
	buffer_load_dword v2, off, s[0:3], s33 offset:400 ; 4-byte Folded Reload
	buffer_load_dword v3, off, s[0:3], s33 offset:404 ; 4-byte Folded Reload
	v_mov_b32_e32 v31, v30
	s_waitcnt vmcnt(0)
	v_lshlrev_b64 v[2:3], 1, v[2:3]
	s_waitcnt lgkmcnt(0)
	v_add_co_u32_e32 v2, vcc, v0, v2
	v_addc_co_u32_e32 v3, vcc, v1, v3, vcc
	v_lshlrev_b64 v[0:1], 1, v[48:49]
	v_add_co_u32_e32 v0, vcc, v2, v0
	v_addc_co_u32_e32 v1, vcc, v3, v1, vcc
	ds_write_b64 v0, v[0:1]
	ds_write_b64 v0, v[30:31]
.LBB12_52:                              ;   in Loop: Header=BB12_49 Depth=1
	s_or_b64 exec, exec, s[20:21]
	v_and_b32_e32 v0, 12, v53
	v_min_u32_e32 v55, v55, v41
	v_cmp_ne_u32_e32 vcc, 0, v0
	s_and_saveexec_b64 s[22:23], vcc
	s_cbranch_execz .LBB12_78
; %bb.53:                               ;   in Loop: Header=BB12_49 Depth=1
	buffer_load_dword v0, off, s[0:3], s33 offset:128 ; 4-byte Folded Reload
	buffer_load_dword v1, off, s[0:3], s33 offset:132 ; 4-byte Folded Reload
	;; [unrolled: 1-line block ×6, first 2 shown]
	v_and_b32_e32 v8, 8, v53
	s_waitcnt vmcnt(0)
	v_add_co_u32_e32 v2, vcc, v0, v8
	s_waitcnt vmcnt(4)
	v_addc_co_u32_e32 v3, vcc, 0, v1, vcc
	s_waitcnt vmcnt(1)
	v_add_co_u32_e32 v0, vcc, 1, v6
	s_waitcnt vmcnt(0)
	v_addc_co_u32_e32 v1, vcc, 0, v7, vcc
	v_cmp_lt_u64_e32 vcc, v[2:3], v[0:1]
	s_and_saveexec_b64 s[60:61], vcc
	s_cbranch_execz .LBB12_65
; %bb.54:                               ;   in Loop: Header=BB12_49 Depth=1
	v_and_b32_e32 v2, 64, v53
	s_mov_b32 s51, 0
	v_cmp_eq_u32_e32 vcc, 0, v2
	s_mov_b64 s[62:63], 0
                                        ; implicit-def: $sgpr72_sgpr73
                                        ; implicit-def: $sgpr74_sgpr75
                                        ; implicit-def: $sgpr76_sgpr77
	s_branch .LBB12_58
.LBB12_55:                              ;   in Loop: Header=BB12_58 Depth=2
	buffer_load_dword v3, off, s[0:3], s33 offset:128 ; 4-byte Folded Reload
	buffer_load_dword v4, off, s[0:3], s33 offset:132 ; 4-byte Folded Reload
	s_or_b64 s[90:91], s[90:91], exec
	s_waitcnt vmcnt(1)
	v_add_co_u32_e64 v3, s[20:21], v3, v8
	s_waitcnt vmcnt(0)
	v_addc_co_u32_e64 v4, s[20:21], 0, v4, s[20:21]
	v_cmp_ge_u64_e64 s[20:21], v[3:4], v[0:1]
	s_orn2_b64 s[88:89], s[20:21], exec
.LBB12_56:                              ;   in Loop: Header=BB12_58 Depth=2
	s_or_b64 exec, exec, s[94:95]
	s_andn2_b64 s[20:21], s[76:77], exec
	s_and_b64 s[76:77], s[90:91], exec
	s_or_b64 s[76:77], s[20:21], s[76:77]
	s_andn2_b64 s[20:21], s[74:75], exec
	s_and_b64 s[74:75], s[88:89], exec
	s_or_b64 s[74:75], s[20:21], s[74:75]
.LBB12_57:                              ;   in Loop: Header=BB12_58 Depth=2
	s_or_b64 exec, exec, s[78:79]
	s_and_b64 s[20:21], exec, s[74:75]
	s_or_b64 s[62:63], s[20:21], s[62:63]
	s_andn2_b64 s[20:21], s[72:73], exec
	s_and_b64 s[72:73], s[76:77], exec
	s_or_b64 s[72:73], s[20:21], s[72:73]
	s_andn2_b64 exec, exec, s[62:63]
	s_cbranch_execz .LBB12_62
.LBB12_58:                              ;   Parent Loop BB12_49 Depth=1
                                        ; =>  This Inner Loop Header: Depth=2
	s_sleep 1
	buffer_load_dword v2, off, s[0:3], s33 offset:136 ; 4-byte Folded Reload
	buffer_load_dword v3, off, s[0:3], s33 offset:140 ; 4-byte Folded Reload
	s_or_b64 s[76:77], s[76:77], exec
	s_or_b64 s[74:75], s[74:75], exec
	s_waitcnt vmcnt(0)
	flat_load_dwordx2 v[2:3], v[2:3] glc
	s_waitcnt vmcnt(0) lgkmcnt(0)
	buffer_store_dword v2, off, s[0:3], s33 offset:128 ; 4-byte Folded Spill
	s_nop 0
	buffer_store_dword v3, off, s[0:3], s33 offset:132 ; 4-byte Folded Spill
                                        ; implicit-def: $vgpr2
	s_and_saveexec_b64 s[78:79], vcc
	s_cbranch_execz .LBB12_57
; %bb.59:                               ;   in Loop: Header=BB12_58 Depth=2
	s_cmpk_lt_i32 s51, 0x270f
	s_cselect_b64 s[92:93], -1, 0
	s_cmpk_gt_i32 s51, 0x270e
	s_mov_b64 s[88:89], -1
	s_cbranch_scc0 .LBB12_61
; %bb.60:                               ;   in Loop: Header=BB12_58 Depth=2
	s_trap 2
	ds_read_b64 v[2:3], v0
	s_andn2_b64 s[92:93], s[92:93], exec
	s_mov_b32 s51, 0
	s_mov_b64 s[90:91], 0
	s_waitcnt vmcnt(0) lgkmcnt(0)
	flat_load_dword v2, v[2:3] glc
	s_waitcnt vmcnt(0) lgkmcnt(0)
	buffer_wbinvl1_vol
	v_cmp_eq_u32_e64 s[20:21], 0, v2
	s_and_b64 s[20:21], s[20:21], exec
	s_or_b64 s[92:93], s[92:93], s[20:21]
	s_and_saveexec_b64 s[94:95], s[92:93]
	s_cbranch_execz .LBB12_56
	s_branch .LBB12_55
.LBB12_61:                              ;   in Loop: Header=BB12_58 Depth=2
	s_add_i32 s51, s51, 1
	s_mov_b64 s[90:91], -1
                                        ; implicit-def: $vgpr2
	s_and_saveexec_b64 s[94:95], s[92:93]
	s_cbranch_execz .LBB12_56
	s_branch .LBB12_55
.LBB12_62:                              ;   in Loop: Header=BB12_49 Depth=1
	s_or_b64 exec, exec, s[62:63]
	s_xor_b64 s[20:21], s[72:73], -1
	s_and_saveexec_b64 s[62:63], s[20:21]
	s_xor_b64 s[20:21], exec, s[62:63]
	s_cbranch_execz .LBB12_64
; %bb.63:                               ;   in Loop: Header=BB12_49 Depth=1
	v_or_b32_e32 v53, 64, v53
	ds_write_b32 v0, v2
	s_trap 2
.LBB12_64:                              ;   in Loop: Header=BB12_49 Depth=1
	s_or_b64 exec, exec, s[20:21]
.LBB12_65:                              ;   in Loop: Header=BB12_49 Depth=1
	s_or_b64 exec, exec, s[60:61]
	v_and_b32_e32 v2, 0x108, v53
	v_cmp_ne_u32_e32 vcc, s39, v2
	;;#ASMSTART
	s_wakeup
	;;#ASMEND
                                        ; implicit-def: $vgpr2_vgpr3
	s_and_saveexec_b64 s[20:21], vcc
	s_xor_b64 s[20:21], exec, s[20:21]
	s_cbranch_execz .LBB12_67
; %bb.66:                               ;   in Loop: Header=BB12_49 Depth=1
	buffer_load_dword v2, off, s[0:3], s33 offset:144 ; 4-byte Folded Reload
	buffer_load_dword v3, off, s[0:3], s33 offset:148 ; 4-byte Folded Reload
	buffer_load_dword v4, off, s[0:3], s33 offset:152 ; 4-byte Folded Reload
	buffer_load_dword v5, off, s[0:3], s33 offset:156 ; 4-byte Folded Reload
	s_waitcnt vmcnt(0)
	v_mov_b32_e32 v3, v30
	s_waitcnt vmcnt(1)
	v_and_b32_e32 v2, 7, v4
.LBB12_67:                              ;   in Loop: Header=BB12_49 Depth=1
	s_andn2_saveexec_b64 s[20:21], s[20:21]
	s_cbranch_execz .LBB12_69
; %bb.68:                               ;   in Loop: Header=BB12_49 Depth=1
	buffer_load_dword v2, off, s[0:3], s33 offset:144 ; 4-byte Folded Reload
	buffer_load_dword v3, off, s[0:3], s33 offset:148 ; 4-byte Folded Reload
	;; [unrolled: 1-line block ×4, first 2 shown]
	v_lshlrev_b32_e32 v6, 1, v55
	v_mov_b32_e32 v7, v30
	s_waitcnt vmcnt(0)
	v_mov_b32_e32 v5, v4
	v_mov_b32_e32 v4, v3
	;; [unrolled: 1-line block ×3, first 2 shown]
	v_and_b32_e32 v2, 7, v5
	v_mad_u64_u32 v[4:5], s[60:61], v2, 24, v[3:4]
	v_mov_b32_e32 v3, v30
	flat_store_dwordx2 v[4:5], v[6:7] offset:8
.LBB12_69:                              ;   in Loop: Header=BB12_49 Depth=1
	s_or_b64 exec, exec, s[20:21]
	v_and_b32_e32 v4, 0x100, v53
	v_cmp_ne_u32_e32 vcc, 0, v4
	s_mov_b64 s[20:21], -1
                                        ; implicit-def: $vgpr4_vgpr5
	s_and_saveexec_b64 s[60:61], vcc
	s_cbranch_execz .LBB12_73
; %bb.70:                               ;   in Loop: Header=BB12_49 Depth=1
	buffer_load_dword v4, off, s[0:3], s33 offset:144 ; 4-byte Folded Reload
	buffer_load_dword v5, off, s[0:3], s33 offset:148 ; 4-byte Folded Reload
	;; [unrolled: 1-line block ×4, first 2 shown]
	s_waitcnt vmcnt(0)
	v_mad_u64_u32 v[6:7], s[20:21], v2, 24, v[4:5]
	v_mov_b32_e32 v4, v7
	v_mad_u64_u32 v[4:5], s[20:21], v3, 24, v[4:5]
	v_mov_b32_e32 v7, v4
	flat_load_dword v4, v[6:7]
	s_waitcnt vmcnt(0) lgkmcnt(0)
	v_cmp_ne_u32_e32 vcc, 1, v4
	v_cmp_eq_u32_e64 s[20:21], 1, v4
                                        ; implicit-def: $vgpr4_vgpr5
	s_and_saveexec_b64 s[62:63], s[20:21]
	s_cbranch_execz .LBB12_72
; %bb.71:                               ;   in Loop: Header=BB12_49 Depth=1
	flat_load_dword v4, v[6:7] offset:4 glc
	s_waitcnt vmcnt(0) lgkmcnt(0)
	v_ashrrev_i32_e32 v5, 31, v4
	v_lshrrev_b64 v[4:5], 1, v[4:5]
.LBB12_72:                              ;   in Loop: Header=BB12_49 Depth=1
	s_or_b64 exec, exec, s[62:63]
	s_orn2_b64 s[20:21], vcc, exec
.LBB12_73:                              ;   in Loop: Header=BB12_49 Depth=1
	s_or_b64 exec, exec, s[60:61]
	s_and_saveexec_b64 s[60:61], s[20:21]
	s_cbranch_execz .LBB12_75
; %bb.74:                               ;   in Loop: Header=BB12_49 Depth=1
	buffer_load_dword v4, off, s[0:3], s33 offset:412 ; 4-byte Folded Reload
	v_mul_lo_u32 v6, v2, v50
	s_waitcnt vmcnt(0)
	v_mul_lo_u32 v3, v3, v4
	v_mad_u64_u32 v[4:5], s[20:21], v2, v4, 0
	v_add3_u32 v5, v5, v6, v3
.LBB12_75:                              ;   in Loop: Header=BB12_49 Depth=1
	s_or_b64 exec, exec, s[60:61]
	s_waitcnt vmcnt(0)
	v_lshlrev_b64 v[2:3], 1, v[4:5]
	buffer_load_dword v4, off, s[0:3], s33 offset:320 ; 4-byte Folded Reload
	buffer_load_dword v5, off, s[0:3], s33 offset:324 ; 4-byte Folded Reload
	v_cmp_eq_u32_e32 vcc, 0, v8
	v_cndmask_b32_e32 v6, v52, v54, vcc
	s_waitcnt vmcnt(0)
	v_add_co_u32_e32 v2, vcc, v4, v2
	v_addc_co_u32_e32 v3, vcc, v5, v3, vcc
	v_add_u32_e32 v4, v0, v6
	ds_write_b64 v4, v[2:3] offset:584
	v_and_b32_e32 v2, 0x2000, v53
	v_cmp_ne_u32_e32 vcc, 0, v2
	s_and_saveexec_b64 s[20:21], vcc
	s_cbranch_execz .LBB12_77
; %bb.76:                               ;   in Loop: Header=BB12_49 Depth=1
	ds_read_b64 v[2:3], v0 offset:872
	s_waitcnt lgkmcnt(0)
	v_add_co_u32_e32 v2, vcc, 1, v2
	v_addc_co_u32_e32 v3, vcc, 0, v3, vcc
	ds_write_b64 v0, v[2:3] offset:872
.LBB12_77:                              ;   in Loop: Header=BB12_49 Depth=1
	s_or_b64 exec, exec, s[20:21]
	buffer_load_dword v2, off, s[0:3], s33 offset:144 ; 4-byte Folded Reload
	buffer_load_dword v3, off, s[0:3], s33 offset:148 ; 4-byte Folded Reload
	;; [unrolled: 1-line block ×4, first 2 shown]
	s_waitcnt vmcnt(0)
	v_mov_b32_e32 v5, v1
	v_mov_b32_e32 v4, v0
	buffer_store_dword v2, off, s[0:3], s33 offset:144 ; 4-byte Folded Spill
	s_nop 0
	buffer_store_dword v3, off, s[0:3], s33 offset:148 ; 4-byte Folded Spill
	buffer_store_dword v4, off, s[0:3], s33 offset:152 ; 4-byte Folded Spill
	;; [unrolled: 1-line block ×3, first 2 shown]
.LBB12_78:                              ;   in Loop: Header=BB12_49 Depth=1
	s_or_b64 exec, exec, s[22:23]
	s_and_saveexec_b64 s[20:21], s[10:11]
	s_cbranch_execz .LBB12_97
; %bb.79:                               ;   in Loop: Header=BB12_49 Depth=1
	s_and_saveexec_b64 s[22:23], s[42:43]
	s_xor_b64 s[22:23], exec, s[22:23]
	s_cbranch_execz .LBB12_94
; %bb.80:                               ;   in Loop: Header=BB12_49 Depth=1
	s_and_saveexec_b64 s[60:61], s[12:13]
	s_cbranch_execz .LBB12_93
; %bb.81:                               ;   in Loop: Header=BB12_49 Depth=1
	s_mov_b64 s[72:73], exec
	v_mbcnt_lo_u32_b32 v0, s72, 0
	v_mbcnt_hi_u32_b32 v0, s73, v0
	v_cmp_eq_u32_e32 vcc, 0, v0
	s_waitcnt vmcnt(0) lgkmcnt(0)
	buffer_wbinvl1_vol
	s_and_saveexec_b64 s[62:63], vcc
	s_cbranch_execz .LBB12_83
; %bb.82:                               ;   in Loop: Header=BB12_49 Depth=1
	s_bcnt1_i32_b64 s72, s[72:73]
	v_mov_b32_e32 v0, s72
	v_mov_b32_e32 v1, v30
	ds_add_u64 v0, v[0:1]
	s_trap 2
.LBB12_83:                              ;   in Loop: Header=BB12_49 Depth=1
	s_or_b64 exec, exec, s[62:63]
	s_trap 2
	ds_read_b64 v[0:1], v0
	s_waitcnt lgkmcnt(0)
	buffer_load_dword v2, off, s[0:3], s33 offset:160 ; 4-byte Folded Reload
	buffer_load_dword v3, off, s[0:3], s33 offset:164 ; 4-byte Folded Reload
	;; [unrolled: 1-line block ×3, first 2 shown]
	s_waitcnt vmcnt(0)
	v_add_co_u32_e32 v2, vcc, v2, v4
	v_addc_co_u32_e32 v3, vcc, 0, v3, vcc
	buffer_store_dword v2, off, s[0:3], s33 offset:160 ; 4-byte Folded Spill
	s_nop 0
	buffer_store_dword v3, off, s[0:3], s33 offset:164 ; 4-byte Folded Spill
	v_cmp_lt_u64_e32 vcc, v[0:1], v[2:3]
	s_and_saveexec_b64 s[62:63], vcc
	s_cbranch_execz .LBB12_92
; %bb.84:                               ;   in Loop: Header=BB12_49 Depth=1
	s_mov_b32 s92, 0
	s_mov_b64 s[72:73], 0
                                        ; implicit-def: $sgpr74_sgpr75
                                        ; implicit-def: $sgpr76_sgpr77
	s_branch .LBB12_86
.LBB12_85:                              ;   in Loop: Header=BB12_86 Depth=2
	s_or_b64 exec, exec, s[88:89]
	s_and_b64 s[78:79], exec, s[90:91]
	s_or_b64 s[72:73], s[78:79], s[72:73]
	s_andn2_b64 s[74:75], s[74:75], exec
	s_and_b64 s[78:79], s[76:77], exec
	s_or_b64 s[74:75], s[74:75], s[78:79]
	s_andn2_b64 exec, exec, s[72:73]
	s_cbranch_execz .LBB12_90
.LBB12_86:                              ;   Parent Loop BB12_49 Depth=1
                                        ; =>  This Inner Loop Header: Depth=2
	s_add_i32 s92, s92, 1
	s_cmpk_lg_i32 s92, 0x2710
	s_cselect_b64 s[78:79], -1, 0
	s_and_b64 vcc, exec, s[78:79]
	s_cbranch_vccz .LBB12_88
; %bb.87:                               ;   in Loop: Header=BB12_86 Depth=2
	s_mov_b64 s[90:91], -1
	s_or_b64 s[76:77], s[76:77], exec
	s_and_saveexec_b64 s[88:89], s[78:79]
	s_cbranch_execz .LBB12_85
	s_branch .LBB12_89
.LBB12_88:                              ;   in Loop: Header=BB12_86 Depth=2
	s_trap 2
	ds_read_b64 v[0:1], v0
	s_andn2_b64 s[78:79], s[78:79], exec
	s_mov_b32 s92, 0
	s_waitcnt vmcnt(0) lgkmcnt(0)
	flat_load_dword v0, v[0:1] glc
	s_waitcnt vmcnt(0) lgkmcnt(0)
	buffer_wbinvl1_vol
	v_cmp_eq_u32_e32 vcc, 0, v0
	s_and_b64 s[88:89], vcc, exec
	s_or_b64 s[78:79], s[78:79], s[88:89]
	s_mov_b64 s[90:91], -1
	s_or_b64 s[76:77], s[76:77], exec
	s_and_saveexec_b64 s[88:89], s[78:79]
	s_cbranch_execz .LBB12_85
.LBB12_89:                              ;   in Loop: Header=BB12_86 Depth=2
	s_sleep 1
	s_trap 2
	ds_read_b64 v[0:1], v0
	s_waitcnt lgkmcnt(0)
	buffer_load_dword v2, off, s[0:3], s33 offset:160 ; 4-byte Folded Reload
	buffer_load_dword v3, off, s[0:3], s33 offset:164 ; 4-byte Folded Reload
	s_andn2_b64 s[76:77], s[76:77], exec
	s_waitcnt vmcnt(0)
	v_cmp_ge_u64_e32 vcc, v[0:1], v[2:3]
	s_orn2_b64 s[90:91], vcc, exec
	s_branch .LBB12_85
.LBB12_90:                              ;   in Loop: Header=BB12_49 Depth=1
	s_or_b64 exec, exec, s[72:73]
	s_and_saveexec_b64 s[72:73], s[74:75]
	s_xor_b64 s[72:73], exec, s[72:73]
	s_cbranch_execz .LBB12_92
; %bb.91:                               ;   in Loop: Header=BB12_49 Depth=1
	ds_write_b32 v0, v51
	s_trap 2
.LBB12_92:                              ;   in Loop: Header=BB12_49 Depth=1
	s_or_b64 exec, exec, s[62:63]
	;;#ASMSTART
	s_wakeup
	;;#ASMEND
.LBB12_93:                              ;   in Loop: Header=BB12_49 Depth=1
	s_or_b64 exec, exec, s[60:61]
.LBB12_94:                              ;   in Loop: Header=BB12_49 Depth=1
	s_andn2_saveexec_b64 s[22:23], s[22:23]
	s_cbranch_execz .LBB12_96
; %bb.95:                               ;   in Loop: Header=BB12_49 Depth=1
	s_waitcnt vmcnt(0) lgkmcnt(0)
	buffer_wbinvl1_vol
	s_barrier
.LBB12_96:                              ;   in Loop: Header=BB12_49 Depth=1
	s_or_b64 exec, exec, s[22:23]
.LBB12_97:                              ;   in Loop: Header=BB12_49 Depth=1
	s_or_b64 exec, exec, s[20:21]
	s_trap 2
	ds_read_b32 v0, v0
	v_and_b32_e32 v1, 0x4000, v53
	v_cmp_ne_u32_e32 vcc, 0, v1
	s_and_b64 s[22:23], s[46:47], vcc
	s_and_saveexec_b64 s[20:21], s[22:23]
	s_cbranch_execz .LBB12_116
; %bb.98:                               ;   in Loop: Header=BB12_49 Depth=1
	s_and_saveexec_b64 s[22:23], s[42:43]
	s_xor_b64 s[22:23], exec, s[22:23]
	s_cbranch_execz .LBB12_113
; %bb.99:                               ;   in Loop: Header=BB12_49 Depth=1
	s_and_saveexec_b64 s[60:61], s[12:13]
	s_cbranch_execz .LBB12_112
; %bb.100:                              ;   in Loop: Header=BB12_49 Depth=1
	s_mov_b64 s[72:73], exec
	v_mbcnt_lo_u32_b32 v1, s72, 0
	v_mbcnt_hi_u32_b32 v1, s73, v1
	v_cmp_eq_u32_e32 vcc, 0, v1
	s_waitcnt vmcnt(0) lgkmcnt(0)
	buffer_wbinvl1_vol
	s_and_saveexec_b64 s[62:63], vcc
	s_cbranch_execz .LBB12_102
; %bb.101:                              ;   in Loop: Header=BB12_49 Depth=1
	s_bcnt1_i32_b64 s72, s[72:73]
	v_mov_b32_e32 v1, s72
	v_mov_b32_e32 v2, v30
	ds_add_u64 v0, v[1:2]
	s_trap 2
.LBB12_102:                             ;   in Loop: Header=BB12_49 Depth=1
	s_or_b64 exec, exec, s[62:63]
	s_trap 2
	ds_read_b64 v[1:2], v0
	s_waitcnt lgkmcnt(0)
	buffer_load_dword v3, off, s[0:3], s33 offset:160 ; 4-byte Folded Reload
	buffer_load_dword v4, off, s[0:3], s33 offset:164 ; 4-byte Folded Reload
	;; [unrolled: 1-line block ×3, first 2 shown]
	s_waitcnt vmcnt(0)
	v_add_co_u32_e32 v3, vcc, v3, v5
	v_addc_co_u32_e32 v4, vcc, 0, v4, vcc
	buffer_store_dword v3, off, s[0:3], s33 offset:160 ; 4-byte Folded Spill
	s_nop 0
	buffer_store_dword v4, off, s[0:3], s33 offset:164 ; 4-byte Folded Spill
	v_cmp_lt_u64_e32 vcc, v[1:2], v[3:4]
	s_and_saveexec_b64 s[62:63], vcc
	s_cbranch_execz .LBB12_111
; %bb.103:                              ;   in Loop: Header=BB12_49 Depth=1
	s_mov_b32 s92, 0
	s_mov_b64 s[72:73], 0
                                        ; implicit-def: $sgpr74_sgpr75
                                        ; implicit-def: $sgpr76_sgpr77
	s_branch .LBB12_105
.LBB12_104:                             ;   in Loop: Header=BB12_105 Depth=2
	s_or_b64 exec, exec, s[88:89]
	s_and_b64 s[78:79], exec, s[90:91]
	s_or_b64 s[72:73], s[78:79], s[72:73]
	s_andn2_b64 s[74:75], s[74:75], exec
	s_and_b64 s[78:79], s[76:77], exec
	s_or_b64 s[74:75], s[74:75], s[78:79]
	s_andn2_b64 exec, exec, s[72:73]
	s_cbranch_execz .LBB12_109
.LBB12_105:                             ;   Parent Loop BB12_49 Depth=1
                                        ; =>  This Inner Loop Header: Depth=2
	s_add_i32 s92, s92, 1
	s_cmpk_lg_i32 s92, 0x2710
	s_cselect_b64 s[78:79], -1, 0
	s_and_b64 vcc, exec, s[78:79]
	s_cbranch_vccz .LBB12_107
; %bb.106:                              ;   in Loop: Header=BB12_105 Depth=2
	s_mov_b64 s[90:91], -1
	s_or_b64 s[76:77], s[76:77], exec
	s_and_saveexec_b64 s[88:89], s[78:79]
	s_cbranch_execz .LBB12_104
	s_branch .LBB12_108
.LBB12_107:                             ;   in Loop: Header=BB12_105 Depth=2
	s_trap 2
	ds_read_b64 v[1:2], v0
	s_andn2_b64 s[78:79], s[78:79], exec
	s_mov_b32 s92, 0
	s_waitcnt vmcnt(0) lgkmcnt(0)
	flat_load_dword v1, v[1:2] glc
	s_waitcnt vmcnt(0) lgkmcnt(0)
	buffer_wbinvl1_vol
	v_cmp_eq_u32_e32 vcc, 0, v1
	s_and_b64 s[88:89], vcc, exec
	s_or_b64 s[78:79], s[78:79], s[88:89]
	s_mov_b64 s[90:91], -1
	s_or_b64 s[76:77], s[76:77], exec
	s_and_saveexec_b64 s[88:89], s[78:79]
	s_cbranch_execz .LBB12_104
.LBB12_108:                             ;   in Loop: Header=BB12_105 Depth=2
	s_sleep 1
	s_trap 2
	ds_read_b64 v[1:2], v0
	s_waitcnt lgkmcnt(0)
	buffer_load_dword v3, off, s[0:3], s33 offset:160 ; 4-byte Folded Reload
	buffer_load_dword v4, off, s[0:3], s33 offset:164 ; 4-byte Folded Reload
	s_andn2_b64 s[76:77], s[76:77], exec
	s_waitcnt vmcnt(0)
	v_cmp_ge_u64_e32 vcc, v[1:2], v[3:4]
	s_orn2_b64 s[90:91], vcc, exec
	s_branch .LBB12_104
.LBB12_109:                             ;   in Loop: Header=BB12_49 Depth=1
	s_or_b64 exec, exec, s[72:73]
	s_and_saveexec_b64 s[72:73], s[74:75]
	s_xor_b64 s[72:73], exec, s[72:73]
	s_cbranch_execz .LBB12_111
; %bb.110:                              ;   in Loop: Header=BB12_49 Depth=1
	ds_write_b32 v0, v51
	s_trap 2
.LBB12_111:                             ;   in Loop: Header=BB12_49 Depth=1
	s_or_b64 exec, exec, s[62:63]
	;;#ASMSTART
	s_wakeup
	;;#ASMEND
.LBB12_112:                             ;   in Loop: Header=BB12_49 Depth=1
	s_or_b64 exec, exec, s[60:61]
.LBB12_113:                             ;   in Loop: Header=BB12_49 Depth=1
	s_andn2_saveexec_b64 s[22:23], s[22:23]
	s_cbranch_execz .LBB12_115
; %bb.114:                              ;   in Loop: Header=BB12_49 Depth=1
	s_waitcnt vmcnt(0) lgkmcnt(0)
	buffer_wbinvl1_vol
	s_barrier
.LBB12_115:                             ;   in Loop: Header=BB12_49 Depth=1
	s_or_b64 exec, exec, s[22:23]
.LBB12_116:                             ;   in Loop: Header=BB12_49 Depth=1
	s_or_b64 exec, exec, s[20:21]
	s_trap 2
	s_waitcnt lgkmcnt(0)
	ds_read_b64 v[1:2], v0
	s_waitcnt lgkmcnt(0)
	buffer_store_dword v1, off, s[0:3], s33 offset:448 ; 4-byte Folded Spill
	s_nop 0
	buffer_store_dword v2, off, s[0:3], s33 offset:452 ; 4-byte Folded Spill
	v_cmp_eq_u64_e32 vcc, 0, v[1:2]
	s_cbranch_vccnz .LBB12_124
; %bb.117:                              ;   in Loop: Header=BB12_49 Depth=1
	s_trap 2
	ds_read_b64 v[28:29], v0
	s_waitcnt lgkmcnt(0)
	v_cmp_eq_u64_e32 vcc, 0, v[28:29]
	s_cbranch_vccnz .LBB12_124
; %bb.118:                              ;   in Loop: Header=BB12_49 Depth=1
	s_mov_b64 s[22:23], -1
	s_and_saveexec_b64 s[20:21], s[14:15]
	s_cbranch_execz .LBB12_120
; %bb.119:                              ;   in Loop: Header=BB12_49 Depth=1
	ds_read_b32 v1, v0 offset:720
	s_waitcnt lgkmcnt(0)
	v_and_b32_e32 v1, 15, v1
	v_cmp_eq_u32_e32 vcc, 0, v1
	s_orn2_b64 s[22:23], vcc, exec
.LBB12_120:                             ;   in Loop: Header=BB12_49 Depth=1
	s_or_b64 exec, exec, s[20:21]
	s_and_saveexec_b64 s[20:21], s[16:17]
	s_cbranch_execz .LBB12_122
; %bb.121:                              ;   in Loop: Header=BB12_49 Depth=1
	ds_read_b32 v1, v0 offset:784
	s_waitcnt lgkmcnt(0)
	v_and_b32_e32 v1, 15, v1
	v_cmp_eq_u32_e32 vcc, 0, v1
	s_and_b64 s[60:61], s[22:23], vcc
	s_andn2_b64 s[22:23], s[22:23], exec
	s_and_b64 s[60:61], s[60:61], exec
	s_or_b64 s[22:23], s[22:23], s[60:61]
.LBB12_122:                             ;   in Loop: Header=BB12_49 Depth=1
	s_or_b64 exec, exec, s[20:21]
	s_xor_b64 s[22:23], s[22:23], -1
	v_cmp_eq_u32_e64 s[20:21], 0, v0
	v_cndmask_b32_e64 v0, 0, 1, s[22:23]
	s_mov_b64 s[62:63], -1
	v_cmp_ne_u32_e32 vcc, 0, v0
	s_cbranch_vccz .LBB12_125
; %bb.123:                              ;   in Loop: Header=BB12_49 Depth=1
	s_mov_b64 s[62:63], 0
	s_mov_b64 s[60:61], -1
	s_branch .LBB12_126
.LBB12_124:                             ;   in Loop: Header=BB12_49 Depth=1
	s_mov_b64 s[20:21], 0
	s_and_saveexec_b64 s[22:23], s[10:11]
	s_cbranch_execnz .LBB12_868
	s_branch .LBB12_886
.LBB12_125:                             ;   in Loop: Header=BB12_49 Depth=1
	s_mov_b64 s[60:61], 0
.LBB12_126:                             ;   in Loop: Header=BB12_49 Depth=1
	v_cndmask_b32_e64 v27, 0, v55, s[20:21]
	v_lshlrev_b32_e32 v42, 1, v27
	s_andn2_b64 vcc, exec, s[62:63]
	v_mov_b32_e32 v6, 0
	s_cbranch_vccnz .LBB12_392
; %bb.127:                              ;   in Loop: Header=BB12_49 Depth=1
	v_lshrrev_b32_e32 v0, 11, v27
	buffer_store_dword v0, off, s[0:3], s33 offset:504 ; 4-byte Folded Spill
	v_sub_u32_e32 v2, v0, v40
	buffer_load_dword v0, off, s[0:3], s33 offset:512 ; 4-byte Folded Reload
	buffer_load_dword v1, off, s[0:3], s33 offset:516 ; 4-byte Folded Reload
	s_mov_b64 s[22:23], 0
	buffer_store_dword v27, off, s[0:3], s33 offset:484 ; 4-byte Folded Spill
                                        ; implicit-def: $vgpr56_vgpr57
                                        ; implicit-def: $vgpr36_vgpr37
                                        ; implicit-def: $vgpr14_vgpr15
	s_waitcnt vmcnt(2)
	v_add_co_u32_e32 v0, vcc, v28, v0
	buffer_store_dword v28, off, s[0:3], s33 offset:492 ; 4-byte Folded Spill
	s_nop 0
	buffer_store_dword v29, off, s[0:3], s33 offset:496 ; 4-byte Folded Spill
	buffer_store_dword v2, off, s[0:3], s33 offset:248 ; 4-byte Folded Spill
	s_waitcnt vmcnt(4)
	v_addc_co_u32_e32 v1, vcc, v29, v1, vcc
	v_cmp_lt_i32_e32 vcc, 0, v2
                                        ; implicit-def: $vgpr2_vgpr3
                                        ; implicit-def: $vgpr26_vgpr27
	buffer_store_dword v2, off, s[0:3], s33 offset:216 ; 4-byte Folded Spill
	s_nop 0
	buffer_store_dword v3, off, s[0:3], s33 offset:220 ; 4-byte Folded Spill
	buffer_store_dword v4, off, s[0:3], s33 offset:224 ; 4-byte Folded Spill
	buffer_store_dword v5, off, s[0:3], s33 offset:228 ; 4-byte Folded Spill
                                        ; implicit-def: $vgpr2_vgpr3
	buffer_store_dword v2, off, s[0:3], s33 offset:200 ; 4-byte Folded Spill
	s_nop 0
	buffer_store_dword v3, off, s[0:3], s33 offset:204 ; 4-byte Folded Spill
	buffer_store_dword v4, off, s[0:3], s33 offset:208 ; 4-byte Folded Spill
	buffer_store_dword v5, off, s[0:3], s33 offset:212 ; 4-byte Folded Spill
                                        ; implicit-def: $vgpr2_vgpr3
	;; [unrolled: 6-line block ×3, first 2 shown]
	buffer_store_dword v2, off, s[0:3], s33 offset:168 ; 4-byte Folded Spill
	s_nop 0
	buffer_store_dword v3, off, s[0:3], s33 offset:172 ; 4-byte Folded Spill
	buffer_store_dword v4, off, s[0:3], s33 offset:176 ; 4-byte Folded Spill
	;; [unrolled: 1-line block ×3, first 2 shown]
	s_and_saveexec_b64 s[20:21], vcc
	s_cbranch_execz .LBB12_394
; %bb.128:                              ;   in Loop: Header=BB12_49 Depth=1
	buffer_store_dword v42, off, s[0:3], s33 offset:500 ; 4-byte Folded Spill
	buffer_store_dword v55, off, s[0:3], s33 offset:480 ; 4-byte Folded Spill
	buffer_store_dword v41, off, s[0:3], s33 offset:472 ; 4-byte Folded Spill
	s_nop 0
	buffer_store_dword v42, off, s[0:3], s33 offset:476 ; 4-byte Folded Spill
	buffer_store_dword v48, off, s[0:3], s33 offset:464 ; 4-byte Folded Spill
	s_nop 0
	buffer_store_dword v49, off, s[0:3], s33 offset:468 ; 4-byte Folded Spill
	buffer_store_dword v53, off, s[0:3], s33 offset:456 ; 4-byte Folded Spill
	s_trap 2
	buffer_load_dword v4, off, s[0:3], s33 offset:512 ; 4-byte Folded Reload
	ds_read_b64 v[2:3], v0
	s_mov_b64 s[72:73], 0
                                        ; implicit-def: $sgpr62_sgpr63
                                        ; implicit-def: $vgpr56_vgpr57
                                        ; implicit-def: $vgpr36_vgpr37
                                        ; implicit-def: $vgpr26_vgpr27
                                        ; implicit-def: $vgpr14_vgpr15
	s_waitcnt vmcnt(0) lgkmcnt(0)
	v_add_co_u32_e32 v60, vcc, v2, v4
	buffer_load_dword v2, off, s[0:3], s33 offset:516 ; 4-byte Folded Reload
	buffer_load_dword v5, off, s[0:3], s33 offset:448 ; 4-byte Folded Reload
	buffer_load_dword v6, off, s[0:3], s33 offset:452 ; 4-byte Folded Reload
	s_waitcnt vmcnt(2)
	v_addc_co_u32_e32 v61, vcc, v3, v2, vcc
	s_waitcnt vmcnt(1)
	v_add_co_u32_e32 v22, vcc, v5, v4
	s_waitcnt vmcnt(0)
	v_addc_co_u32_e32 v23, vcc, v6, v2, vcc
                                        ; implicit-def: $vgpr2_vgpr3
	buffer_store_dword v2, off, s[0:3], s33 offset:216 ; 4-byte Folded Spill
	s_nop 0
	buffer_store_dword v3, off, s[0:3], s33 offset:220 ; 4-byte Folded Spill
	buffer_store_dword v4, off, s[0:3], s33 offset:224 ; 4-byte Folded Spill
	buffer_store_dword v5, off, s[0:3], s33 offset:228 ; 4-byte Folded Spill
                                        ; implicit-def: $vgpr2_vgpr3
	buffer_store_dword v2, off, s[0:3], s33 offset:200 ; 4-byte Folded Spill
	s_nop 0
	buffer_store_dword v3, off, s[0:3], s33 offset:204 ; 4-byte Folded Spill
	buffer_store_dword v4, off, s[0:3], s33 offset:208 ; 4-byte Folded Spill
	buffer_store_dword v5, off, s[0:3], s33 offset:212 ; 4-byte Folded Spill
	;; [unrolled: 6-line block ×4, first 2 shown]
	s_branch .LBB12_130
.LBB12_129:                             ;   in Loop: Header=BB12_130 Depth=2
	s_or_b64 exec, exec, s[74:75]
	buffer_load_dword v2, off, s[0:3], s33 offset:248 ; 4-byte Folded Reload
	s_waitcnt vmcnt(0)
	v_cmp_gt_i32_e32 vcc, 1, v2
	s_or_b64 s[22:23], vcc, s[22:23]
	s_andn2_b64 s[62:63], s[62:63], exec
	s_and_b64 s[74:75], s[72:73], exec
	s_or_b64 s[62:63], s[62:63], s[74:75]
	s_andn2_b64 exec, exec, s[22:23]
	s_cbranch_execz .LBB12_393
.LBB12_130:                             ;   Parent Loop BB12_49 Depth=1
                                        ; =>  This Inner Loop Header: Depth=2
	global_load_dwordx4 v[10:13], v[22:23], off glc slc
	global_load_dwordx4 v[2:5], v[22:23], off offset:1024 glc slc
	global_load_dwordx4 v[40:43], v[22:23], off offset:2048 glc slc
	;; [unrolled: 1-line block ×3, first 2 shown]
	global_load_dwordx4 v[18:21], v[60:61], off glc slc
	global_load_dwordx4 v[6:9], v[60:61], off offset:1024 glc slc
	global_load_dwordx4 v[44:47], v[60:61], off offset:2048 glc slc
	;; [unrolled: 1-line block ×3, first 2 shown]
	s_and_saveexec_b64 s[74:75], s[72:73]
	s_cbranch_execz .LBB12_260
; %bb.131:                              ;   in Loop: Header=BB12_130 Depth=2
	buffer_load_dword v31, off, s[0:3], s33 offset:216 ; 4-byte Folded Reload
	buffer_load_dword v32, off, s[0:3], s33 offset:220 ; 4-byte Folded Reload
	buffer_load_dword v33, off, s[0:3], s33 offset:224 ; 4-byte Folded Reload
	buffer_load_dword v34, off, s[0:3], s33 offset:228 ; 4-byte Folded Reload
	v_lshlrev_b32_e32 v24, 16, v56
	s_waitcnt vmcnt(3)
	v_lshlrev_b32_e32 v25, 16, v31
	v_add_f32_e32 v24, v24, v25
	v_and_b32_e32 v25, 0x7f800000, v24
	v_cmp_ne_u32_e32 vcc, s48, v25
                                        ; implicit-def: $vgpr25
                                        ; kill: killed $vgpr25
	s_and_saveexec_b64 s[72:73], vcc
	s_xor_b64 s[72:73], exec, s[72:73]
	s_cbranch_execz .LBB12_133
; %bb.132:                              ;   in Loop: Header=BB12_130 Depth=2
	v_bfe_u32 v25, v24, 16, 1
	v_add3_u32 v24, v24, v25, s49
	buffer_store_dword v24, off, s[0:3], s33 offset:328 ; 4-byte Folded Spill
                                        ; implicit-def: $vgpr24
.LBB12_133:                             ;   in Loop: Header=BB12_130 Depth=2
	s_andn2_saveexec_b64 s[72:73], s[72:73]
	s_cbranch_execz .LBB12_135
; %bb.134:                              ;   in Loop: Header=BB12_130 Depth=2
	v_or_b32_e32 v25, 0x10000, v24
	v_cmp_eq_u32_sdwa vcc, v24, v30 src0_sel:WORD_0 src1_sel:DWORD
	v_cndmask_b32_e32 v24, v25, v24, vcc
	buffer_store_dword v24, off, s[0:3], s33 offset:328 ; 4-byte Folded Spill
.LBB12_135:                             ;   in Loop: Header=BB12_130 Depth=2
	s_or_b64 exec, exec, s[72:73]
	buffer_load_dword v31, off, s[0:3], s33 offset:216 ; 4-byte Folded Reload
	buffer_load_dword v32, off, s[0:3], s33 offset:220 ; 4-byte Folded Reload
	buffer_load_dword v33, off, s[0:3], s33 offset:224 ; 4-byte Folded Reload
	buffer_load_dword v34, off, s[0:3], s33 offset:228 ; 4-byte Folded Reload
	v_and_b32_e32 v24, 0xffff0000, v56
	s_waitcnt vmcnt(3)
	v_and_b32_e32 v25, 0xffff0000, v31
	v_add_f32_e32 v24, v24, v25
	v_and_b32_e32 v25, 0x7f800000, v24
	v_cmp_ne_u32_e32 vcc, s48, v25
                                        ; implicit-def: $vgpr25
                                        ; kill: killed $vgpr25
	s_and_saveexec_b64 s[72:73], vcc
	s_xor_b64 s[72:73], exec, s[72:73]
	s_cbranch_execz .LBB12_137
; %bb.136:                              ;   in Loop: Header=BB12_130 Depth=2
	v_bfe_u32 v25, v24, 16, 1
	v_add3_u32 v24, v24, v25, s49
	buffer_store_dword v24, off, s[0:3], s33 offset:332 ; 4-byte Folded Spill
                                        ; implicit-def: $vgpr24
.LBB12_137:                             ;   in Loop: Header=BB12_130 Depth=2
	s_andn2_saveexec_b64 s[72:73], s[72:73]
	s_cbranch_execz .LBB12_139
; %bb.138:                              ;   in Loop: Header=BB12_130 Depth=2
	v_or_b32_e32 v25, 0x10000, v24
	v_cmp_eq_u32_sdwa vcc, v24, v30 src0_sel:WORD_0 src1_sel:DWORD
	v_cndmask_b32_e32 v24, v25, v24, vcc
	buffer_store_dword v24, off, s[0:3], s33 offset:332 ; 4-byte Folded Spill
.LBB12_139:                             ;   in Loop: Header=BB12_130 Depth=2
	s_or_b64 exec, exec, s[72:73]
	buffer_load_dword v31, off, s[0:3], s33 offset:216 ; 4-byte Folded Reload
	buffer_load_dword v32, off, s[0:3], s33 offset:220 ; 4-byte Folded Reload
	buffer_load_dword v33, off, s[0:3], s33 offset:224 ; 4-byte Folded Reload
	buffer_load_dword v34, off, s[0:3], s33 offset:228 ; 4-byte Folded Reload
	v_lshlrev_b32_e32 v24, 16, v57
	s_waitcnt vmcnt(2)
	v_lshlrev_b32_e32 v25, 16, v32
	v_add_f32_e32 v24, v24, v25
	v_and_b32_e32 v25, 0x7f800000, v24
	v_cmp_ne_u32_e32 vcc, s48, v25
                                        ; implicit-def: $vgpr25
                                        ; kill: killed $vgpr25
	s_and_saveexec_b64 s[72:73], vcc
	s_xor_b64 s[72:73], exec, s[72:73]
	s_cbranch_execz .LBB12_141
; %bb.140:                              ;   in Loop: Header=BB12_130 Depth=2
	v_bfe_u32 v25, v24, 16, 1
	v_add3_u32 v24, v24, v25, s49
	buffer_store_dword v24, off, s[0:3], s33 offset:340 ; 4-byte Folded Spill
                                        ; implicit-def: $vgpr24
.LBB12_141:                             ;   in Loop: Header=BB12_130 Depth=2
	s_andn2_saveexec_b64 s[72:73], s[72:73]
	s_cbranch_execz .LBB12_143
; %bb.142:                              ;   in Loop: Header=BB12_130 Depth=2
	v_or_b32_e32 v25, 0x10000, v24
	v_cmp_eq_u32_sdwa vcc, v24, v30 src0_sel:WORD_0 src1_sel:DWORD
	v_cndmask_b32_e32 v24, v25, v24, vcc
	buffer_store_dword v24, off, s[0:3], s33 offset:340 ; 4-byte Folded Spill
.LBB12_143:                             ;   in Loop: Header=BB12_130 Depth=2
	s_or_b64 exec, exec, s[72:73]
	buffer_load_dword v31, off, s[0:3], s33 offset:216 ; 4-byte Folded Reload
	buffer_load_dword v32, off, s[0:3], s33 offset:220 ; 4-byte Folded Reload
	buffer_load_dword v33, off, s[0:3], s33 offset:224 ; 4-byte Folded Reload
	buffer_load_dword v34, off, s[0:3], s33 offset:228 ; 4-byte Folded Reload
	v_and_b32_e32 v24, 0xffff0000, v57
	s_waitcnt vmcnt(2)
	v_and_b32_e32 v25, 0xffff0000, v32
	v_add_f32_e32 v24, v24, v25
	v_and_b32_e32 v25, 0x7f800000, v24
	v_cmp_ne_u32_e32 vcc, s48, v25
                                        ; implicit-def: $vgpr25
                                        ; kill: killed $vgpr25
	s_and_saveexec_b64 s[72:73], vcc
	s_xor_b64 s[72:73], exec, s[72:73]
	s_cbranch_execz .LBB12_145
; %bb.144:                              ;   in Loop: Header=BB12_130 Depth=2
	v_bfe_u32 v25, v24, 16, 1
	v_add3_u32 v24, v24, v25, s49
	buffer_store_dword v24, off, s[0:3], s33 offset:344 ; 4-byte Folded Spill
                                        ; implicit-def: $vgpr24
.LBB12_145:                             ;   in Loop: Header=BB12_130 Depth=2
	s_andn2_saveexec_b64 s[72:73], s[72:73]
	s_cbranch_execz .LBB12_147
; %bb.146:                              ;   in Loop: Header=BB12_130 Depth=2
	v_or_b32_e32 v25, 0x10000, v24
	v_cmp_eq_u32_sdwa vcc, v24, v30 src0_sel:WORD_0 src1_sel:DWORD
	v_cndmask_b32_e32 v24, v25, v24, vcc
	buffer_store_dword v24, off, s[0:3], s33 offset:344 ; 4-byte Folded Spill
.LBB12_147:                             ;   in Loop: Header=BB12_130 Depth=2
	s_or_b64 exec, exec, s[72:73]
	;; [unrolled: 60-line block ×5, first 2 shown]
	buffer_load_dword v31, off, s[0:3], s33 offset:200 ; 4-byte Folded Reload
	buffer_load_dword v32, off, s[0:3], s33 offset:204 ; 4-byte Folded Reload
	;; [unrolled: 1-line block ×4, first 2 shown]
	v_lshlrev_b32_e32 v24, 16, v37
	s_waitcnt vmcnt(2)
	v_lshlrev_b32_e32 v25, 16, v32
	v_add_f32_e32 v24, v24, v25
	v_and_b32_e32 v25, 0x7f800000, v24
	v_cmp_ne_u32_e32 vcc, s48, v25
                                        ; implicit-def: $vgpr25
                                        ; kill: killed $vgpr25
	s_and_saveexec_b64 s[72:73], vcc
	s_xor_b64 s[72:73], exec, s[72:73]
	s_cbranch_execz .LBB12_173
; %bb.172:                              ;   in Loop: Header=BB12_130 Depth=2
	v_bfe_u32 v25, v24, 16, 1
	v_add3_u32 v24, v24, v25, s49
	buffer_store_dword v24, off, s[0:3], s33 offset:392 ; 4-byte Folded Spill
                                        ; implicit-def: $vgpr24
.LBB12_173:                             ;   in Loop: Header=BB12_130 Depth=2
	s_andn2_saveexec_b64 s[72:73], s[72:73]
	s_cbranch_execz .LBB12_175
; %bb.174:                              ;   in Loop: Header=BB12_130 Depth=2
	v_or_b32_e32 v25, 0x10000, v24
	v_cmp_eq_u32_sdwa vcc, v24, v30 src0_sel:WORD_0 src1_sel:DWORD
	v_cndmask_b32_e32 v24, v25, v24, vcc
	buffer_store_dword v24, off, s[0:3], s33 offset:392 ; 4-byte Folded Spill
.LBB12_175:                             ;   in Loop: Header=BB12_130 Depth=2
	s_or_b64 exec, exec, s[72:73]
	buffer_load_dword v31, off, s[0:3], s33 offset:200 ; 4-byte Folded Reload
	buffer_load_dword v32, off, s[0:3], s33 offset:204 ; 4-byte Folded Reload
	;; [unrolled: 1-line block ×4, first 2 shown]
	v_and_b32_e32 v24, 0xffff0000, v37
                                        ; implicit-def: $vgpr37
	s_waitcnt vmcnt(2)
	v_and_b32_e32 v25, 0xffff0000, v32
	v_add_f32_e32 v24, v24, v25
	v_and_b32_e32 v25, 0x7f800000, v24
	v_cmp_ne_u32_e32 vcc, s48, v25
	s_and_saveexec_b64 s[72:73], vcc
	s_xor_b64 s[72:73], exec, s[72:73]
; %bb.176:                              ;   in Loop: Header=BB12_130 Depth=2
	v_bfe_u32 v25, v24, 16, 1
	v_add3_u32 v37, v24, v25, s49
                                        ; implicit-def: $vgpr24
; %bb.177:                              ;   in Loop: Header=BB12_130 Depth=2
	s_andn2_saveexec_b64 s[72:73], s[72:73]
; %bb.178:                              ;   in Loop: Header=BB12_130 Depth=2
	v_or_b32_e32 v25, 0x10000, v24
	v_cmp_eq_u32_sdwa vcc, v24, v30 src0_sel:WORD_0 src1_sel:DWORD
	v_cndmask_b32_e32 v37, v25, v24, vcc
; %bb.179:                              ;   in Loop: Header=BB12_130 Depth=2
	s_or_b64 exec, exec, s[72:73]
	buffer_load_dword v31, off, s[0:3], s33 offset:200 ; 4-byte Folded Reload
	buffer_load_dword v32, off, s[0:3], s33 offset:204 ; 4-byte Folded Reload
	;; [unrolled: 1-line block ×4, first 2 shown]
	v_lshlrev_b32_e32 v24, 16, v38
	s_waitcnt vmcnt(1)
	v_lshlrev_b32_e32 v25, 16, v33
	v_add_f32_e32 v24, v24, v25
	v_and_b32_e32 v25, 0x7f800000, v24
	v_cmp_ne_u32_e32 vcc, s48, v25
                                        ; implicit-def: $vgpr25
                                        ; kill: killed $vgpr25
	s_and_saveexec_b64 s[72:73], vcc
	s_xor_b64 s[72:73], exec, s[72:73]
	s_cbranch_execz .LBB12_181
; %bb.180:                              ;   in Loop: Header=BB12_130 Depth=2
	v_bfe_u32 v25, v24, 16, 1
	v_add3_u32 v24, v24, v25, s49
	buffer_store_dword v24, off, s[0:3], s33 offset:396 ; 4-byte Folded Spill
                                        ; implicit-def: $vgpr24
.LBB12_181:                             ;   in Loop: Header=BB12_130 Depth=2
	s_andn2_saveexec_b64 s[72:73], s[72:73]
	s_cbranch_execz .LBB12_183
; %bb.182:                              ;   in Loop: Header=BB12_130 Depth=2
	v_or_b32_e32 v25, 0x10000, v24
	v_cmp_eq_u32_sdwa vcc, v24, v30 src0_sel:WORD_0 src1_sel:DWORD
	v_cndmask_b32_e32 v24, v25, v24, vcc
	buffer_store_dword v24, off, s[0:3], s33 offset:396 ; 4-byte Folded Spill
.LBB12_183:                             ;   in Loop: Header=BB12_130 Depth=2
	s_or_b64 exec, exec, s[72:73]
	buffer_load_dword v31, off, s[0:3], s33 offset:200 ; 4-byte Folded Reload
	buffer_load_dword v32, off, s[0:3], s33 offset:204 ; 4-byte Folded Reload
	;; [unrolled: 1-line block ×4, first 2 shown]
	v_and_b32_e32 v24, 0xffff0000, v38
                                        ; implicit-def: $vgpr38
	s_waitcnt vmcnt(1)
	v_and_b32_e32 v25, 0xffff0000, v33
	v_add_f32_e32 v24, v24, v25
	v_and_b32_e32 v25, 0x7f800000, v24
	v_cmp_ne_u32_e32 vcc, s48, v25
	s_and_saveexec_b64 s[72:73], vcc
	s_xor_b64 s[72:73], exec, s[72:73]
; %bb.184:                              ;   in Loop: Header=BB12_130 Depth=2
	v_bfe_u32 v25, v24, 16, 1
	v_add3_u32 v38, v24, v25, s49
                                        ; implicit-def: $vgpr24
; %bb.185:                              ;   in Loop: Header=BB12_130 Depth=2
	s_andn2_saveexec_b64 s[72:73], s[72:73]
; %bb.186:                              ;   in Loop: Header=BB12_130 Depth=2
	v_or_b32_e32 v25, 0x10000, v24
	v_cmp_eq_u32_sdwa vcc, v24, v30 src0_sel:WORD_0 src1_sel:DWORD
	v_cndmask_b32_e32 v38, v25, v24, vcc
; %bb.187:                              ;   in Loop: Header=BB12_130 Depth=2
	s_or_b64 exec, exec, s[72:73]
	buffer_load_dword v31, off, s[0:3], s33 offset:200 ; 4-byte Folded Reload
	buffer_load_dword v32, off, s[0:3], s33 offset:204 ; 4-byte Folded Reload
	;; [unrolled: 1-line block ×4, first 2 shown]
	v_lshlrev_b32_e32 v24, 16, v39
                                        ; implicit-def: $vgpr57
	s_waitcnt vmcnt(0)
	v_lshlrev_b32_e32 v25, 16, v34
	v_add_f32_e32 v24, v24, v25
	v_and_b32_e32 v25, 0x7f800000, v24
	v_cmp_ne_u32_e32 vcc, s48, v25
	s_and_saveexec_b64 s[72:73], vcc
	s_xor_b64 s[72:73], exec, s[72:73]
; %bb.188:                              ;   in Loop: Header=BB12_130 Depth=2
	v_bfe_u32 v25, v24, 16, 1
	v_add3_u32 v57, v24, v25, s49
                                        ; implicit-def: $vgpr24
; %bb.189:                              ;   in Loop: Header=BB12_130 Depth=2
	s_andn2_saveexec_b64 s[72:73], s[72:73]
; %bb.190:                              ;   in Loop: Header=BB12_130 Depth=2
	v_or_b32_e32 v25, 0x10000, v24
	v_cmp_eq_u32_sdwa vcc, v24, v30 src0_sel:WORD_0 src1_sel:DWORD
	v_cndmask_b32_e32 v57, v25, v24, vcc
; %bb.191:                              ;   in Loop: Header=BB12_130 Depth=2
	s_or_b64 exec, exec, s[72:73]
	buffer_load_dword v31, off, s[0:3], s33 offset:200 ; 4-byte Folded Reload
	buffer_load_dword v32, off, s[0:3], s33 offset:204 ; 4-byte Folded Reload
	;; [unrolled: 1-line block ×4, first 2 shown]
	v_and_b32_e32 v24, 0xffff0000, v39
                                        ; implicit-def: $vgpr39
	s_waitcnt vmcnt(0)
	v_and_b32_e32 v25, 0xffff0000, v34
	v_add_f32_e32 v24, v24, v25
	v_and_b32_e32 v25, 0x7f800000, v24
	v_cmp_ne_u32_e32 vcc, s48, v25
	s_and_saveexec_b64 s[72:73], vcc
	s_xor_b64 s[72:73], exec, s[72:73]
; %bb.192:                              ;   in Loop: Header=BB12_130 Depth=2
	v_bfe_u32 v25, v24, 16, 1
	v_add3_u32 v39, v24, v25, s49
                                        ; implicit-def: $vgpr24
; %bb.193:                              ;   in Loop: Header=BB12_130 Depth=2
	s_andn2_saveexec_b64 s[72:73], s[72:73]
; %bb.194:                              ;   in Loop: Header=BB12_130 Depth=2
	v_or_b32_e32 v25, 0x10000, v24
	v_cmp_eq_u32_sdwa vcc, v24, v30 src0_sel:WORD_0 src1_sel:DWORD
	v_cndmask_b32_e32 v39, v25, v24, vcc
; %bb.195:                              ;   in Loop: Header=BB12_130 Depth=2
	s_or_b64 exec, exec, s[72:73]
	buffer_load_dword v31, off, s[0:3], s33 offset:184 ; 4-byte Folded Reload
	buffer_load_dword v32, off, s[0:3], s33 offset:188 ; 4-byte Folded Reload
	;; [unrolled: 1-line block ×4, first 2 shown]
	v_lshlrev_b32_e32 v24, 16, v26
                                        ; implicit-def: $vgpr58
	s_waitcnt vmcnt(3)
	v_lshlrev_b32_e32 v25, 16, v31
	v_add_f32_e32 v24, v24, v25
	v_and_b32_e32 v25, 0x7f800000, v24
	v_cmp_ne_u32_e32 vcc, s48, v25
	s_and_saveexec_b64 s[72:73], vcc
	s_xor_b64 s[72:73], exec, s[72:73]
; %bb.196:                              ;   in Loop: Header=BB12_130 Depth=2
	v_bfe_u32 v25, v24, 16, 1
	v_add3_u32 v58, v24, v25, s49
                                        ; implicit-def: $vgpr24
; %bb.197:                              ;   in Loop: Header=BB12_130 Depth=2
	s_andn2_saveexec_b64 s[72:73], s[72:73]
; %bb.198:                              ;   in Loop: Header=BB12_130 Depth=2
	v_or_b32_e32 v25, 0x10000, v24
	v_cmp_eq_u32_sdwa vcc, v24, v30 src0_sel:WORD_0 src1_sel:DWORD
	v_cndmask_b32_e32 v58, v25, v24, vcc
; %bb.199:                              ;   in Loop: Header=BB12_130 Depth=2
	s_or_b64 exec, exec, s[72:73]
	buffer_load_dword v31, off, s[0:3], s33 offset:184 ; 4-byte Folded Reload
	buffer_load_dword v32, off, s[0:3], s33 offset:188 ; 4-byte Folded Reload
	;; [unrolled: 1-line block ×4, first 2 shown]
	v_and_b32_e32 v24, 0xffff0000, v26
                                        ; implicit-def: $vgpr26
	s_waitcnt vmcnt(3)
	v_and_b32_e32 v25, 0xffff0000, v31
	v_add_f32_e32 v24, v24, v25
	v_and_b32_e32 v25, 0x7f800000, v24
	v_cmp_ne_u32_e32 vcc, s48, v25
	s_and_saveexec_b64 s[72:73], vcc
	s_xor_b64 s[72:73], exec, s[72:73]
; %bb.200:                              ;   in Loop: Header=BB12_130 Depth=2
	v_bfe_u32 v25, v24, 16, 1
	v_add3_u32 v26, v24, v25, s49
                                        ; implicit-def: $vgpr24
; %bb.201:                              ;   in Loop: Header=BB12_130 Depth=2
	s_andn2_saveexec_b64 s[72:73], s[72:73]
; %bb.202:                              ;   in Loop: Header=BB12_130 Depth=2
	v_or_b32_e32 v25, 0x10000, v24
	v_cmp_eq_u32_sdwa vcc, v24, v30 src0_sel:WORD_0 src1_sel:DWORD
	v_cndmask_b32_e32 v26, v25, v24, vcc
; %bb.203:                              ;   in Loop: Header=BB12_130 Depth=2
	s_or_b64 exec, exec, s[72:73]
	buffer_load_dword v31, off, s[0:3], s33 offset:184 ; 4-byte Folded Reload
	buffer_load_dword v32, off, s[0:3], s33 offset:188 ; 4-byte Folded Reload
	;; [unrolled: 1-line block ×4, first 2 shown]
	v_lshlrev_b32_e32 v24, 16, v27
	s_waitcnt vmcnt(2)
	v_lshlrev_b32_e32 v25, 16, v32
	v_add_f32_e32 v25, v24, v25
	v_and_b32_e32 v24, 0x7f800000, v25
	v_cmp_ne_u32_e32 vcc, s48, v24
                                        ; implicit-def: $vgpr24
	s_and_saveexec_b64 s[72:73], vcc
	s_xor_b64 s[72:73], exec, s[72:73]
; %bb.204:                              ;   in Loop: Header=BB12_130 Depth=2
	v_bfe_u32 v24, v25, 16, 1
	v_add3_u32 v24, v25, v24, s49
                                        ; implicit-def: $vgpr25
; %bb.205:                              ;   in Loop: Header=BB12_130 Depth=2
	s_andn2_saveexec_b64 s[72:73], s[72:73]
; %bb.206:                              ;   in Loop: Header=BB12_130 Depth=2
	v_or_b32_e32 v24, 0x10000, v25
	v_cmp_eq_u32_sdwa vcc, v25, v30 src0_sel:WORD_0 src1_sel:DWORD
	v_cndmask_b32_e32 v24, v24, v25, vcc
; %bb.207:                              ;   in Loop: Header=BB12_130 Depth=2
	s_or_b64 exec, exec, s[72:73]
	buffer_load_dword v31, off, s[0:3], s33 offset:184 ; 4-byte Folded Reload
	buffer_load_dword v32, off, s[0:3], s33 offset:188 ; 4-byte Folded Reload
	;; [unrolled: 1-line block ×4, first 2 shown]
	v_and_b32_e32 v25, 0xffff0000, v27
	s_waitcnt vmcnt(2)
	v_and_b32_e32 v27, 0xffff0000, v32
	v_add_f32_e32 v25, v25, v27
	v_and_b32_e32 v27, 0x7f800000, v25
	v_cmp_ne_u32_e32 vcc, s48, v27
                                        ; implicit-def: $vgpr27
	s_and_saveexec_b64 s[72:73], vcc
	s_xor_b64 s[72:73], exec, s[72:73]
; %bb.208:                              ;   in Loop: Header=BB12_130 Depth=2
	v_bfe_u32 v27, v25, 16, 1
	v_add3_u32 v27, v25, v27, s49
                                        ; implicit-def: $vgpr25
; %bb.209:                              ;   in Loop: Header=BB12_130 Depth=2
	s_andn2_saveexec_b64 s[72:73], s[72:73]
; %bb.210:                              ;   in Loop: Header=BB12_130 Depth=2
	v_or_b32_e32 v27, 0x10000, v25
	v_cmp_eq_u32_sdwa vcc, v25, v30 src0_sel:WORD_0 src1_sel:DWORD
	v_cndmask_b32_e32 v27, v27, v25, vcc
; %bb.211:                              ;   in Loop: Header=BB12_130 Depth=2
	s_or_b64 exec, exec, s[72:73]
	buffer_load_dword v31, off, s[0:3], s33 offset:184 ; 4-byte Folded Reload
	buffer_load_dword v32, off, s[0:3], s33 offset:188 ; 4-byte Folded Reload
	;; [unrolled: 1-line block ×4, first 2 shown]
	v_lshlrev_b32_e32 v25, 16, v28
                                        ; implicit-def: $vgpr59
	s_waitcnt vmcnt(1)
	v_lshlrev_b32_e32 v31, 16, v33
	v_add_f32_e32 v25, v25, v31
	v_and_b32_e32 v31, 0x7f800000, v25
	v_cmp_ne_u32_e32 vcc, s48, v31
	s_and_saveexec_b64 s[72:73], vcc
	s_xor_b64 s[72:73], exec, s[72:73]
; %bb.212:                              ;   in Loop: Header=BB12_130 Depth=2
	v_bfe_u32 v31, v25, 16, 1
	v_add3_u32 v59, v25, v31, s49
                                        ; implicit-def: $vgpr25
; %bb.213:                              ;   in Loop: Header=BB12_130 Depth=2
	s_andn2_saveexec_b64 s[72:73], s[72:73]
; %bb.214:                              ;   in Loop: Header=BB12_130 Depth=2
	v_or_b32_e32 v31, 0x10000, v25
	v_cmp_eq_u32_sdwa vcc, v25, v30 src0_sel:WORD_0 src1_sel:DWORD
	v_cndmask_b32_e32 v59, v31, v25, vcc
; %bb.215:                              ;   in Loop: Header=BB12_130 Depth=2
	s_or_b64 exec, exec, s[72:73]
	buffer_load_dword v31, off, s[0:3], s33 offset:184 ; 4-byte Folded Reload
	buffer_load_dword v32, off, s[0:3], s33 offset:188 ; 4-byte Folded Reload
	;; [unrolled: 1-line block ×4, first 2 shown]
	v_and_b32_e32 v25, 0xffff0000, v28
	s_waitcnt vmcnt(1)
	v_and_b32_e32 v28, 0xffff0000, v33
	v_add_f32_e32 v25, v25, v28
	v_and_b32_e32 v28, 0x7f800000, v25
	v_cmp_ne_u32_e32 vcc, s48, v28
                                        ; implicit-def: $vgpr28
	s_and_saveexec_b64 s[72:73], vcc
	s_xor_b64 s[72:73], exec, s[72:73]
; %bb.216:                              ;   in Loop: Header=BB12_130 Depth=2
	v_bfe_u32 v28, v25, 16, 1
	v_add3_u32 v28, v25, v28, s49
                                        ; implicit-def: $vgpr25
; %bb.217:                              ;   in Loop: Header=BB12_130 Depth=2
	s_andn2_saveexec_b64 s[72:73], s[72:73]
; %bb.218:                              ;   in Loop: Header=BB12_130 Depth=2
	v_or_b32_e32 v28, 0x10000, v25
	v_cmp_eq_u32_sdwa vcc, v25, v30 src0_sel:WORD_0 src1_sel:DWORD
	v_cndmask_b32_e32 v28, v28, v25, vcc
; %bb.219:                              ;   in Loop: Header=BB12_130 Depth=2
	s_or_b64 exec, exec, s[72:73]
	buffer_load_dword v31, off, s[0:3], s33 offset:184 ; 4-byte Folded Reload
	buffer_load_dword v32, off, s[0:3], s33 offset:188 ; 4-byte Folded Reload
	;; [unrolled: 1-line block ×4, first 2 shown]
	v_lshlrev_b32_e32 v25, 16, v29
                                        ; implicit-def: $vgpr56
	s_waitcnt vmcnt(0)
	v_lshlrev_b32_e32 v31, 16, v34
	v_add_f32_e32 v25, v25, v31
	v_and_b32_e32 v31, 0x7f800000, v25
	v_cmp_ne_u32_e32 vcc, s48, v31
	s_and_saveexec_b64 s[72:73], vcc
	s_xor_b64 s[72:73], exec, s[72:73]
; %bb.220:                              ;   in Loop: Header=BB12_130 Depth=2
	v_bfe_u32 v31, v25, 16, 1
	v_add3_u32 v56, v25, v31, s49
                                        ; implicit-def: $vgpr25
; %bb.221:                              ;   in Loop: Header=BB12_130 Depth=2
	s_andn2_saveexec_b64 s[72:73], s[72:73]
; %bb.222:                              ;   in Loop: Header=BB12_130 Depth=2
	v_or_b32_e32 v31, 0x10000, v25
	v_cmp_eq_u32_sdwa vcc, v25, v30 src0_sel:WORD_0 src1_sel:DWORD
	v_cndmask_b32_e32 v56, v31, v25, vcc
; %bb.223:                              ;   in Loop: Header=BB12_130 Depth=2
	s_or_b64 exec, exec, s[72:73]
	buffer_load_dword v31, off, s[0:3], s33 offset:184 ; 4-byte Folded Reload
	buffer_load_dword v32, off, s[0:3], s33 offset:188 ; 4-byte Folded Reload
	;; [unrolled: 1-line block ×4, first 2 shown]
	v_and_b32_e32 v25, 0xffff0000, v29
	s_waitcnt vmcnt(0)
	v_and_b32_e32 v29, 0xffff0000, v34
	v_add_f32_e32 v25, v25, v29
	v_and_b32_e32 v29, 0x7f800000, v25
	v_cmp_ne_u32_e32 vcc, s48, v29
                                        ; implicit-def: $vgpr29
	s_and_saveexec_b64 s[72:73], vcc
	s_xor_b64 s[72:73], exec, s[72:73]
; %bb.224:                              ;   in Loop: Header=BB12_130 Depth=2
	v_bfe_u32 v29, v25, 16, 1
	v_add3_u32 v29, v25, v29, s49
                                        ; implicit-def: $vgpr25
; %bb.225:                              ;   in Loop: Header=BB12_130 Depth=2
	s_andn2_saveexec_b64 s[72:73], s[72:73]
; %bb.226:                              ;   in Loop: Header=BB12_130 Depth=2
	v_or_b32_e32 v29, 0x10000, v25
	v_cmp_eq_u32_sdwa vcc, v25, v30 src0_sel:WORD_0 src1_sel:DWORD
	v_cndmask_b32_e32 v29, v29, v25, vcc
; %bb.227:                              ;   in Loop: Header=BB12_130 Depth=2
	s_or_b64 exec, exec, s[72:73]
	buffer_load_dword v31, off, s[0:3], s33 offset:168 ; 4-byte Folded Reload
	buffer_load_dword v32, off, s[0:3], s33 offset:172 ; 4-byte Folded Reload
	buffer_load_dword v33, off, s[0:3], s33 offset:176 ; 4-byte Folded Reload
	buffer_load_dword v34, off, s[0:3], s33 offset:180 ; 4-byte Folded Reload
	v_lshlrev_b32_e32 v25, 16, v14
	s_waitcnt vmcnt(3)
	v_lshlrev_b32_e32 v31, 16, v31
	v_add_f32_e32 v31, v25, v31
	v_and_b32_e32 v25, 0x7f800000, v31
	v_cmp_ne_u32_e32 vcc, s48, v25
                                        ; implicit-def: $vgpr25
	s_and_saveexec_b64 s[72:73], vcc
	s_xor_b64 s[72:73], exec, s[72:73]
; %bb.228:                              ;   in Loop: Header=BB12_130 Depth=2
	v_bfe_u32 v25, v31, 16, 1
	v_add3_u32 v25, v31, v25, s49
                                        ; implicit-def: $vgpr31
; %bb.229:                              ;   in Loop: Header=BB12_130 Depth=2
	s_andn2_saveexec_b64 s[72:73], s[72:73]
; %bb.230:                              ;   in Loop: Header=BB12_130 Depth=2
	v_or_b32_e32 v25, 0x10000, v31
	v_cmp_eq_u32_sdwa vcc, v31, v30 src0_sel:WORD_0 src1_sel:DWORD
	v_cndmask_b32_e32 v25, v25, v31, vcc
; %bb.231:                              ;   in Loop: Header=BB12_130 Depth=2
	s_or_b64 exec, exec, s[72:73]
	buffer_load_dword v31, off, s[0:3], s33 offset:168 ; 4-byte Folded Reload
	buffer_load_dword v32, off, s[0:3], s33 offset:172 ; 4-byte Folded Reload
	;; [unrolled: 1-line block ×4, first 2 shown]
	v_and_b32_e32 v14, 0xffff0000, v14
	s_waitcnt vmcnt(3)
	v_and_b32_e32 v31, 0xffff0000, v31
	v_add_f32_e32 v31, v14, v31
	v_and_b32_e32 v14, 0x7f800000, v31
	v_cmp_ne_u32_e32 vcc, s48, v14
                                        ; implicit-def: $vgpr14
	s_and_saveexec_b64 s[72:73], vcc
	s_xor_b64 s[72:73], exec, s[72:73]
; %bb.232:                              ;   in Loop: Header=BB12_130 Depth=2
	v_bfe_u32 v14, v31, 16, 1
	v_add3_u32 v14, v31, v14, s49
                                        ; implicit-def: $vgpr31
; %bb.233:                              ;   in Loop: Header=BB12_130 Depth=2
	s_andn2_saveexec_b64 s[72:73], s[72:73]
; %bb.234:                              ;   in Loop: Header=BB12_130 Depth=2
	v_or_b32_e32 v14, 0x10000, v31
	v_cmp_eq_u32_sdwa vcc, v31, v30 src0_sel:WORD_0 src1_sel:DWORD
	v_cndmask_b32_e32 v14, v14, v31, vcc
; %bb.235:                              ;   in Loop: Header=BB12_130 Depth=2
	s_or_b64 exec, exec, s[72:73]
	buffer_load_dword v32, off, s[0:3], s33 offset:168 ; 4-byte Folded Reload
	buffer_load_dword v33, off, s[0:3], s33 offset:172 ; 4-byte Folded Reload
	;; [unrolled: 1-line block ×4, first 2 shown]
	v_lshlrev_b32_e32 v31, 16, v15
	s_waitcnt vmcnt(2)
	v_lshlrev_b32_e32 v32, 16, v33
	v_add_f32_e32 v32, v31, v32
	v_and_b32_e32 v31, 0x7f800000, v32
	v_cmp_ne_u32_e32 vcc, s48, v31
                                        ; implicit-def: $vgpr31
	s_and_saveexec_b64 s[72:73], vcc
	s_xor_b64 s[72:73], exec, s[72:73]
; %bb.236:                              ;   in Loop: Header=BB12_130 Depth=2
	v_bfe_u32 v31, v32, 16, 1
	v_add3_u32 v31, v32, v31, s49
                                        ; implicit-def: $vgpr32
; %bb.237:                              ;   in Loop: Header=BB12_130 Depth=2
	s_andn2_saveexec_b64 s[72:73], s[72:73]
; %bb.238:                              ;   in Loop: Header=BB12_130 Depth=2
	v_or_b32_e32 v31, 0x10000, v32
	v_cmp_eq_u32_sdwa vcc, v32, v30 src0_sel:WORD_0 src1_sel:DWORD
	v_cndmask_b32_e32 v31, v31, v32, vcc
; %bb.239:                              ;   in Loop: Header=BB12_130 Depth=2
	s_or_b64 exec, exec, s[72:73]
	buffer_load_dword v32, off, s[0:3], s33 offset:168 ; 4-byte Folded Reload
	buffer_load_dword v33, off, s[0:3], s33 offset:172 ; 4-byte Folded Reload
	;; [unrolled: 1-line block ×4, first 2 shown]
	v_and_b32_e32 v15, 0xffff0000, v15
	s_waitcnt vmcnt(2)
	v_and_b32_e32 v32, 0xffff0000, v33
	v_add_f32_e32 v32, v15, v32
	v_and_b32_e32 v15, 0x7f800000, v32
	v_cmp_ne_u32_e32 vcc, s48, v15
                                        ; implicit-def: $vgpr15
	s_and_saveexec_b64 s[72:73], vcc
	s_xor_b64 s[72:73], exec, s[72:73]
; %bb.240:                              ;   in Loop: Header=BB12_130 Depth=2
	v_bfe_u32 v15, v32, 16, 1
	v_add3_u32 v15, v32, v15, s49
                                        ; implicit-def: $vgpr32
; %bb.241:                              ;   in Loop: Header=BB12_130 Depth=2
	s_andn2_saveexec_b64 s[72:73], s[72:73]
; %bb.242:                              ;   in Loop: Header=BB12_130 Depth=2
	v_or_b32_e32 v15, 0x10000, v32
	v_cmp_eq_u32_sdwa vcc, v32, v30 src0_sel:WORD_0 src1_sel:DWORD
	v_cndmask_b32_e32 v15, v15, v32, vcc
; %bb.243:                              ;   in Loop: Header=BB12_130 Depth=2
	s_or_b64 exec, exec, s[72:73]
	buffer_load_dword v33, off, s[0:3], s33 offset:168 ; 4-byte Folded Reload
	buffer_load_dword v34, off, s[0:3], s33 offset:172 ; 4-byte Folded Reload
	;; [unrolled: 1-line block ×4, first 2 shown]
	v_lshlrev_b32_e32 v32, 16, v16
                                        ; implicit-def: $vgpr62
	s_waitcnt vmcnt(1)
	v_lshlrev_b32_e32 v33, 16, v35
	v_add_f32_e32 v32, v32, v33
	v_and_b32_e32 v33, 0x7f800000, v32
	v_cmp_ne_u32_e32 vcc, s48, v33
	s_and_saveexec_b64 s[72:73], vcc
	s_xor_b64 s[72:73], exec, s[72:73]
; %bb.244:                              ;   in Loop: Header=BB12_130 Depth=2
	v_bfe_u32 v33, v32, 16, 1
	v_add3_u32 v62, v32, v33, s49
                                        ; implicit-def: $vgpr32
; %bb.245:                              ;   in Loop: Header=BB12_130 Depth=2
	s_andn2_saveexec_b64 s[72:73], s[72:73]
; %bb.246:                              ;   in Loop: Header=BB12_130 Depth=2
	v_or_b32_e32 v33, 0x10000, v32
	v_cmp_eq_u32_sdwa vcc, v32, v30 src0_sel:WORD_0 src1_sel:DWORD
	v_cndmask_b32_e32 v62, v33, v32, vcc
; %bb.247:                              ;   in Loop: Header=BB12_130 Depth=2
	s_or_b64 exec, exec, s[72:73]
	buffer_load_dword v32, off, s[0:3], s33 offset:168 ; 4-byte Folded Reload
	buffer_load_dword v33, off, s[0:3], s33 offset:172 ; 4-byte Folded Reload
	;; [unrolled: 1-line block ×4, first 2 shown]
	v_and_b32_e32 v16, 0xffff0000, v16
	s_waitcnt vmcnt(1)
	v_and_b32_e32 v32, 0xffff0000, v34
	v_add_f32_e32 v32, v16, v32
	v_and_b32_e32 v16, 0x7f800000, v32
	v_cmp_ne_u32_e32 vcc, s48, v16
                                        ; implicit-def: $vgpr16
	s_and_saveexec_b64 s[72:73], vcc
	s_xor_b64 s[72:73], exec, s[72:73]
; %bb.248:                              ;   in Loop: Header=BB12_130 Depth=2
	v_bfe_u32 v16, v32, 16, 1
	v_add3_u32 v16, v32, v16, s49
                                        ; implicit-def: $vgpr32
; %bb.249:                              ;   in Loop: Header=BB12_130 Depth=2
	s_andn2_saveexec_b64 s[72:73], s[72:73]
; %bb.250:                              ;   in Loop: Header=BB12_130 Depth=2
	v_or_b32_e32 v16, 0x10000, v32
	v_cmp_eq_u32_sdwa vcc, v32, v30 src0_sel:WORD_0 src1_sel:DWORD
	v_cndmask_b32_e32 v16, v16, v32, vcc
; %bb.251:                              ;   in Loop: Header=BB12_130 Depth=2
	s_or_b64 exec, exec, s[72:73]
	buffer_load_dword v33, off, s[0:3], s33 offset:168 ; 4-byte Folded Reload
	buffer_load_dword v34, off, s[0:3], s33 offset:172 ; 4-byte Folded Reload
	buffer_load_dword v35, off, s[0:3], s33 offset:176 ; 4-byte Folded Reload
	buffer_load_dword v36, off, s[0:3], s33 offset:180 ; 4-byte Folded Reload
	v_lshlrev_b32_e32 v32, 16, v17
	s_waitcnt vmcnt(0)
	v_lshlrev_b32_e32 v33, 16, v36
	v_add_f32_e32 v33, v32, v33
	v_and_b32_e32 v32, 0x7f800000, v33
	v_cmp_ne_u32_e32 vcc, s48, v32
                                        ; implicit-def: $vgpr32
	s_and_saveexec_b64 s[72:73], vcc
	s_xor_b64 s[72:73], exec, s[72:73]
; %bb.252:                              ;   in Loop: Header=BB12_130 Depth=2
	v_bfe_u32 v32, v33, 16, 1
	v_add3_u32 v32, v33, v32, s49
                                        ; implicit-def: $vgpr33
; %bb.253:                              ;   in Loop: Header=BB12_130 Depth=2
	s_andn2_saveexec_b64 s[72:73], s[72:73]
; %bb.254:                              ;   in Loop: Header=BB12_130 Depth=2
	v_or_b32_e32 v32, 0x10000, v33
	v_cmp_eq_u32_sdwa vcc, v33, v30 src0_sel:WORD_0 src1_sel:DWORD
	v_cndmask_b32_e32 v32, v32, v33, vcc
; %bb.255:                              ;   in Loop: Header=BB12_130 Depth=2
	s_or_b64 exec, exec, s[72:73]
	buffer_load_dword v33, off, s[0:3], s33 offset:168 ; 4-byte Folded Reload
	buffer_load_dword v34, off, s[0:3], s33 offset:172 ; 4-byte Folded Reload
	;; [unrolled: 1-line block ×4, first 2 shown]
	v_and_b32_e32 v17, 0xffff0000, v17
	s_waitcnt vmcnt(0)
	v_and_b32_e32 v33, 0xffff0000, v36
	v_add_f32_e32 v33, v17, v33
	v_and_b32_e32 v17, 0x7f800000, v33
	v_cmp_ne_u32_e32 vcc, s48, v17
                                        ; implicit-def: $vgpr17
	s_and_saveexec_b64 s[72:73], vcc
	s_xor_b64 s[72:73], exec, s[72:73]
; %bb.256:                              ;   in Loop: Header=BB12_130 Depth=2
	v_bfe_u32 v17, v33, 16, 1
	v_add3_u32 v17, v33, v17, s49
                                        ; implicit-def: $vgpr33
; %bb.257:                              ;   in Loop: Header=BB12_130 Depth=2
	s_andn2_saveexec_b64 s[72:73], s[72:73]
; %bb.258:                              ;   in Loop: Header=BB12_130 Depth=2
	v_or_b32_e32 v17, 0x10000, v33
	v_cmp_eq_u32_sdwa vcc, v33, v30 src0_sel:WORD_0 src1_sel:DWORD
	v_cndmask_b32_e32 v17, v17, v33, vcc
; %bb.259:                              ;   in Loop: Header=BB12_130 Depth=2
	s_or_b64 exec, exec, s[72:73]
	v_lshrrev_b32_e32 v24, 16, v24
	v_and_or_b32 v27, v27, s50, v24
	v_lshrrev_b32_e32 v24, 16, v58
	v_and_or_b32 v26, v26, s50, v24
	;; [unrolled: 2-line block ×4, first 2 shown]
	buffer_load_dword v24, off, s[0:3], s33 offset:392 ; 4-byte Folded Reload
	buffer_load_dword v33, off, s[0:3], s33 offset:384 ; 4-byte Folded Reload
	s_waitcnt vmcnt(1)
	v_lshrrev_b32_e32 v24, 16, v24
	v_and_or_b32 v37, v37, s50, v24
	buffer_load_dword v24, off, s[0:3], s33 offset:380 ; 4-byte Folded Reload
	s_waitcnt vmcnt(0)
	v_lshrrev_b32_e32 v24, 16, v24
	v_and_or_b32 v36, v33, s50, v24
	buffer_load_dword v24, off, s[0:3], s33 offset:396 ; 4-byte Folded Reload
	buffer_load_dword v33, off, s[0:3], s33 offset:344 ; 4-byte Folded Reload
	s_waitcnt vmcnt(1)
	v_lshrrev_b32_e32 v24, 16, v24
	v_and_or_b32 v38, v38, s50, v24
	v_lshrrev_b32_e32 v24, 16, v57
	v_and_or_b32 v39, v39, s50, v24
	buffer_load_dword v24, off, s[0:3], s33 offset:340 ; 4-byte Folded Reload
	s_waitcnt vmcnt(0)
	v_lshrrev_b32_e32 v24, 16, v24
	v_and_or_b32 v57, v33, s50, v24
	buffer_load_dword v24, off, s[0:3], s33 offset:328 ; 4-byte Folded Reload
	buffer_load_dword v33, off, s[0:3], s33 offset:332 ; 4-byte Folded Reload
	s_waitcnt vmcnt(1)
	v_lshrrev_b32_e32 v24, 16, v24
	s_waitcnt vmcnt(0)
	v_and_or_b32 v56, v33, s50, v24
	buffer_load_dword v24, off, s[0:3], s33 offset:348 ; 4-byte Folded Reload
	buffer_load_dword v33, off, s[0:3], s33 offset:356 ; 4-byte Folded Reload
	s_waitcnt vmcnt(1)
	v_lshrrev_b32_e32 v24, 16, v24
	s_waitcnt vmcnt(0)
	;; [unrolled: 6-line block ×3, first 2 shown]
	v_and_or_b32 v59, v33, s50, v24
	v_lshrrev_b32_e32 v24, 16, v31
	v_and_or_b32 v15, v15, s50, v24
	v_lshrrev_b32_e32 v24, 16, v25
	;; [unrolled: 2-line block ×4, first 2 shown]
	v_and_or_b32 v17, v17, s50, v24
	global_store_dwordx4 v[0:1], v[56:59], off glc slc
	global_store_dwordx4 v[0:1], v[36:39], off offset:1024 glc slc
	global_store_dwordx4 v[0:1], v[26:29], off offset:2048 glc slc
	;; [unrolled: 1-line block ×3, first 2 shown]
	buffer_load_dword v24, off, s[0:3], s33 offset:304 ; 4-byte Folded Reload
	s_waitcnt vmcnt(0)
	v_add_co_u32_e32 v0, vcc, v0, v24
	buffer_load_dword v24, off, s[0:3], s33 offset:312 ; 4-byte Folded Reload
	s_waitcnt vmcnt(0)
	v_addc_co_u32_e32 v1, vcc, v1, v24, vcc
.LBB12_260:                             ;   in Loop: Header=BB12_130 Depth=2
	s_or_b64 exec, exec, s[74:75]
	buffer_load_dword v24, off, s[0:3], s33 offset:304 ; 4-byte Folded Reload
	buffer_load_dword v25, off, s[0:3], s33 offset:312 ; 4-byte Folded Reload
	s_waitcnt vmcnt(1)
	v_add_co_u32_e32 v22, vcc, v22, v24
	s_waitcnt vmcnt(0)
	v_addc_co_u32_e32 v23, vcc, v23, v25, vcc
	v_add_co_u32_e32 v60, vcc, v60, v24
	v_addc_co_u32_e32 v61, vcc, v61, v25, vcc
	buffer_load_dword v24, off, s[0:3], s33 offset:232 ; 4-byte Folded Reload
	buffer_load_dword v25, off, s[0:3], s33 offset:248 ; 4-byte Folded Reload
	s_waitcnt vmcnt(0)
	v_sub_u32_e32 v25, v25, v24
	v_cmp_lt_i32_e64 s[72:73], 0, v25
	buffer_store_dword v25, off, s[0:3], s33 offset:248 ; 4-byte Folded Spill
	s_and_saveexec_b64 s[74:75], s[72:73]
	s_cbranch_execz .LBB12_262
; %bb.261:                              ;   in Loop: Header=BB12_130 Depth=2
	global_load_dwordx4 v[56:59], v[22:23], off glc slc
	global_load_dwordx4 v[36:39], v[22:23], off offset:1024 glc slc
	global_load_dwordx4 v[26:29], v[22:23], off offset:2048 glc slc
	global_load_dwordx4 v[14:17], v[22:23], off offset:3072 glc slc
	global_load_dwordx4 v[31:34], v[60:61], off glc slc
	v_add_co_u32_e32 v22, vcc, s34, v22
	v_addc_co_u32_e32 v23, vcc, 0, v23, vcc
	s_waitcnt vmcnt(0)
	buffer_store_dword v31, off, s[0:3], s33 offset:216 ; 4-byte Folded Spill
	s_nop 0
	buffer_store_dword v32, off, s[0:3], s33 offset:220 ; 4-byte Folded Spill
	buffer_store_dword v33, off, s[0:3], s33 offset:224 ; 4-byte Folded Spill
	buffer_store_dword v34, off, s[0:3], s33 offset:228 ; 4-byte Folded Spill
	global_load_dwordx4 v[31:34], v[60:61], off offset:1024 glc slc
	s_waitcnt vmcnt(0)
	buffer_store_dword v31, off, s[0:3], s33 offset:200 ; 4-byte Folded Spill
	s_nop 0
	buffer_store_dword v32, off, s[0:3], s33 offset:204 ; 4-byte Folded Spill
	buffer_store_dword v33, off, s[0:3], s33 offset:208 ; 4-byte Folded Spill
	buffer_store_dword v34, off, s[0:3], s33 offset:212 ; 4-byte Folded Spill
	global_load_dwordx4 v[31:34], v[60:61], off offset:2048 glc slc
	;; [unrolled: 7-line block ×3, first 2 shown]
	v_add_co_u32_e32 v60, vcc, 0x1000, v60
	v_addc_co_u32_e32 v61, vcc, 0, v61, vcc
	s_waitcnt vmcnt(0)
	buffer_store_dword v31, off, s[0:3], s33 offset:168 ; 4-byte Folded Spill
	s_nop 0
	buffer_store_dword v32, off, s[0:3], s33 offset:172 ; 4-byte Folded Spill
	buffer_store_dword v33, off, s[0:3], s33 offset:176 ; 4-byte Folded Spill
	;; [unrolled: 1-line block ×3, first 2 shown]
.LBB12_262:                             ;   in Loop: Header=BB12_130 Depth=2
	s_or_b64 exec, exec, s[74:75]
	v_lshlrev_b32_e32 v24, 16, v10
	v_lshlrev_b32_e32 v25, 16, v18
	v_add_f32_e32 v25, v24, v25
	v_and_b32_e32 v24, 0x7f800000, v25
	v_cmp_ne_u32_e32 vcc, s48, v24
                                        ; implicit-def: $vgpr24
	s_and_saveexec_b64 s[74:75], vcc
	s_xor_b64 s[74:75], exec, s[74:75]
; %bb.263:                              ;   in Loop: Header=BB12_130 Depth=2
	v_bfe_u32 v24, v25, 16, 1
	v_add3_u32 v24, v25, v24, s49
                                        ; implicit-def: $vgpr25
; %bb.264:                              ;   in Loop: Header=BB12_130 Depth=2
	s_andn2_saveexec_b64 s[74:75], s[74:75]
; %bb.265:                              ;   in Loop: Header=BB12_130 Depth=2
	v_or_b32_e32 v24, 0x10000, v25
	v_cmp_eq_u32_sdwa vcc, v25, v30 src0_sel:WORD_0 src1_sel:DWORD
	v_cndmask_b32_e32 v24, v24, v25, vcc
; %bb.266:                              ;   in Loop: Header=BB12_130 Depth=2
	s_or_b64 exec, exec, s[74:75]
	v_and_b32_e32 v10, 0xffff0000, v10
	v_and_b32_e32 v18, 0xffff0000, v18
	v_add_f32_e32 v18, v10, v18
	v_and_b32_e32 v10, 0x7f800000, v18
	v_cmp_ne_u32_e32 vcc, s48, v10
                                        ; implicit-def: $vgpr10
	s_and_saveexec_b64 s[74:75], vcc
	s_xor_b64 s[74:75], exec, s[74:75]
; %bb.267:                              ;   in Loop: Header=BB12_130 Depth=2
	v_bfe_u32 v10, v18, 16, 1
	v_add3_u32 v10, v18, v10, s49
                                        ; implicit-def: $vgpr18
; %bb.268:                              ;   in Loop: Header=BB12_130 Depth=2
	s_andn2_saveexec_b64 s[74:75], s[74:75]
; %bb.269:                              ;   in Loop: Header=BB12_130 Depth=2
	v_or_b32_e32 v10, 0x10000, v18
	v_cmp_eq_u32_sdwa vcc, v18, v30 src0_sel:WORD_0 src1_sel:DWORD
	v_cndmask_b32_e32 v10, v10, v18, vcc
; %bb.270:                              ;   in Loop: Header=BB12_130 Depth=2
	s_or_b64 exec, exec, s[74:75]
	v_lshlrev_b32_e32 v18, 16, v11
	v_lshlrev_b32_e32 v25, 16, v19
	v_add_f32_e32 v25, v18, v25
	v_and_b32_e32 v18, 0x7f800000, v25
	v_cmp_ne_u32_e32 vcc, s48, v18
                                        ; implicit-def: $vgpr18
	s_and_saveexec_b64 s[74:75], vcc
	s_xor_b64 s[74:75], exec, s[74:75]
; %bb.271:                              ;   in Loop: Header=BB12_130 Depth=2
	v_bfe_u32 v18, v25, 16, 1
	v_add3_u32 v18, v25, v18, s49
                                        ; implicit-def: $vgpr25
; %bb.272:                              ;   in Loop: Header=BB12_130 Depth=2
	s_andn2_saveexec_b64 s[74:75], s[74:75]
; %bb.273:                              ;   in Loop: Header=BB12_130 Depth=2
	v_or_b32_e32 v18, 0x10000, v25
	v_cmp_eq_u32_sdwa vcc, v25, v30 src0_sel:WORD_0 src1_sel:DWORD
	v_cndmask_b32_e32 v18, v18, v25, vcc
; %bb.274:                              ;   in Loop: Header=BB12_130 Depth=2
	s_or_b64 exec, exec, s[74:75]
	v_and_b32_e32 v11, 0xffff0000, v11
	v_and_b32_e32 v19, 0xffff0000, v19
	v_add_f32_e32 v19, v11, v19
	v_and_b32_e32 v11, 0x7f800000, v19
	v_cmp_ne_u32_e32 vcc, s48, v11
                                        ; implicit-def: $vgpr11
	s_and_saveexec_b64 s[74:75], vcc
	s_xor_b64 s[74:75], exec, s[74:75]
; %bb.275:                              ;   in Loop: Header=BB12_130 Depth=2
	v_bfe_u32 v11, v19, 16, 1
	v_add3_u32 v11, v19, v11, s49
                                        ; implicit-def: $vgpr19
; %bb.276:                              ;   in Loop: Header=BB12_130 Depth=2
	s_andn2_saveexec_b64 s[74:75], s[74:75]
; %bb.277:                              ;   in Loop: Header=BB12_130 Depth=2
	v_or_b32_e32 v11, 0x10000, v19
	v_cmp_eq_u32_sdwa vcc, v19, v30 src0_sel:WORD_0 src1_sel:DWORD
	v_cndmask_b32_e32 v11, v11, v19, vcc
; %bb.278:                              ;   in Loop: Header=BB12_130 Depth=2
	s_or_b64 exec, exec, s[74:75]
	v_lshlrev_b32_e32 v19, 16, v12
	v_lshlrev_b32_e32 v25, 16, v20
	v_add_f32_e32 v25, v19, v25
	v_and_b32_e32 v19, 0x7f800000, v25
	v_cmp_ne_u32_e32 vcc, s48, v19
                                        ; implicit-def: $vgpr19
	s_and_saveexec_b64 s[74:75], vcc
	s_xor_b64 s[74:75], exec, s[74:75]
; %bb.279:                              ;   in Loop: Header=BB12_130 Depth=2
	v_bfe_u32 v19, v25, 16, 1
	v_add3_u32 v19, v25, v19, s49
                                        ; implicit-def: $vgpr25
; %bb.280:                              ;   in Loop: Header=BB12_130 Depth=2
	s_andn2_saveexec_b64 s[74:75], s[74:75]
; %bb.281:                              ;   in Loop: Header=BB12_130 Depth=2
	v_or_b32_e32 v19, 0x10000, v25
	v_cmp_eq_u32_sdwa vcc, v25, v30 src0_sel:WORD_0 src1_sel:DWORD
	v_cndmask_b32_e32 v19, v19, v25, vcc
; %bb.282:                              ;   in Loop: Header=BB12_130 Depth=2
	s_or_b64 exec, exec, s[74:75]
	v_and_b32_e32 v12, 0xffff0000, v12
	v_and_b32_e32 v20, 0xffff0000, v20
	v_add_f32_e32 v20, v12, v20
	v_and_b32_e32 v12, 0x7f800000, v20
	v_cmp_ne_u32_e32 vcc, s48, v12
                                        ; implicit-def: $vgpr12
	s_and_saveexec_b64 s[74:75], vcc
	s_xor_b64 s[74:75], exec, s[74:75]
; %bb.283:                              ;   in Loop: Header=BB12_130 Depth=2
	v_bfe_u32 v12, v20, 16, 1
	v_add3_u32 v12, v20, v12, s49
                                        ; implicit-def: $vgpr20
; %bb.284:                              ;   in Loop: Header=BB12_130 Depth=2
	s_andn2_saveexec_b64 s[74:75], s[74:75]
; %bb.285:                              ;   in Loop: Header=BB12_130 Depth=2
	v_or_b32_e32 v12, 0x10000, v20
	v_cmp_eq_u32_sdwa vcc, v20, v30 src0_sel:WORD_0 src1_sel:DWORD
	v_cndmask_b32_e32 v12, v12, v20, vcc
; %bb.286:                              ;   in Loop: Header=BB12_130 Depth=2
	s_or_b64 exec, exec, s[74:75]
	v_lshlrev_b32_e32 v20, 16, v13
	v_lshlrev_b32_e32 v25, 16, v21
	v_add_f32_e32 v25, v20, v25
	v_and_b32_e32 v20, 0x7f800000, v25
	v_cmp_ne_u32_e32 vcc, s48, v20
                                        ; implicit-def: $vgpr20
	s_and_saveexec_b64 s[74:75], vcc
	s_xor_b64 s[74:75], exec, s[74:75]
; %bb.287:                              ;   in Loop: Header=BB12_130 Depth=2
	v_bfe_u32 v20, v25, 16, 1
	v_add3_u32 v20, v25, v20, s49
                                        ; implicit-def: $vgpr25
; %bb.288:                              ;   in Loop: Header=BB12_130 Depth=2
	s_andn2_saveexec_b64 s[74:75], s[74:75]
; %bb.289:                              ;   in Loop: Header=BB12_130 Depth=2
	v_or_b32_e32 v20, 0x10000, v25
	v_cmp_eq_u32_sdwa vcc, v25, v30 src0_sel:WORD_0 src1_sel:DWORD
	v_cndmask_b32_e32 v20, v20, v25, vcc
; %bb.290:                              ;   in Loop: Header=BB12_130 Depth=2
	s_or_b64 exec, exec, s[74:75]
	v_and_b32_e32 v13, 0xffff0000, v13
	v_and_b32_e32 v21, 0xffff0000, v21
	v_add_f32_e32 v21, v13, v21
	v_and_b32_e32 v13, 0x7f800000, v21
	v_cmp_ne_u32_e32 vcc, s48, v13
                                        ; implicit-def: $vgpr13
	s_and_saveexec_b64 s[74:75], vcc
	s_xor_b64 s[74:75], exec, s[74:75]
; %bb.291:                              ;   in Loop: Header=BB12_130 Depth=2
	v_bfe_u32 v13, v21, 16, 1
	v_add3_u32 v13, v21, v13, s49
                                        ; implicit-def: $vgpr21
; %bb.292:                              ;   in Loop: Header=BB12_130 Depth=2
	s_andn2_saveexec_b64 s[74:75], s[74:75]
; %bb.293:                              ;   in Loop: Header=BB12_130 Depth=2
	v_or_b32_e32 v13, 0x10000, v21
	v_cmp_eq_u32_sdwa vcc, v21, v30 src0_sel:WORD_0 src1_sel:DWORD
	v_cndmask_b32_e32 v13, v13, v21, vcc
; %bb.294:                              ;   in Loop: Header=BB12_130 Depth=2
	s_or_b64 exec, exec, s[74:75]
	v_lshlrev_b32_e32 v21, 16, v2
	v_lshlrev_b32_e32 v25, 16, v6
	v_add_f32_e32 v25, v21, v25
	v_and_b32_e32 v21, 0x7f800000, v25
	v_cmp_ne_u32_e32 vcc, s48, v21
                                        ; implicit-def: $vgpr21
	s_and_saveexec_b64 s[74:75], vcc
	s_xor_b64 s[74:75], exec, s[74:75]
; %bb.295:                              ;   in Loop: Header=BB12_130 Depth=2
	v_bfe_u32 v21, v25, 16, 1
	v_add3_u32 v21, v25, v21, s49
                                        ; implicit-def: $vgpr25
; %bb.296:                              ;   in Loop: Header=BB12_130 Depth=2
	s_andn2_saveexec_b64 s[74:75], s[74:75]
; %bb.297:                              ;   in Loop: Header=BB12_130 Depth=2
	v_or_b32_e32 v21, 0x10000, v25
	v_cmp_eq_u32_sdwa vcc, v25, v30 src0_sel:WORD_0 src1_sel:DWORD
	v_cndmask_b32_e32 v21, v21, v25, vcc
; %bb.298:                              ;   in Loop: Header=BB12_130 Depth=2
	s_or_b64 exec, exec, s[74:75]
	v_and_b32_e32 v2, 0xffff0000, v2
	v_and_b32_e32 v6, 0xffff0000, v6
	v_add_f32_e32 v6, v2, v6
	v_and_b32_e32 v2, 0x7f800000, v6
	v_cmp_ne_u32_e32 vcc, s48, v2
                                        ; implicit-def: $vgpr2
	s_and_saveexec_b64 s[74:75], vcc
	s_xor_b64 s[74:75], exec, s[74:75]
; %bb.299:                              ;   in Loop: Header=BB12_130 Depth=2
	v_bfe_u32 v2, v6, 16, 1
	v_add3_u32 v2, v6, v2, s49
                                        ; implicit-def: $vgpr6
; %bb.300:                              ;   in Loop: Header=BB12_130 Depth=2
	s_andn2_saveexec_b64 s[74:75], s[74:75]
; %bb.301:                              ;   in Loop: Header=BB12_130 Depth=2
	v_or_b32_e32 v2, 0x10000, v6
	v_cmp_eq_u32_sdwa vcc, v6, v30 src0_sel:WORD_0 src1_sel:DWORD
	v_cndmask_b32_e32 v2, v2, v6, vcc
; %bb.302:                              ;   in Loop: Header=BB12_130 Depth=2
	s_or_b64 exec, exec, s[74:75]
	v_lshlrev_b32_e32 v6, 16, v3
	v_lshlrev_b32_e32 v25, 16, v7
	v_add_f32_e32 v25, v6, v25
	v_and_b32_e32 v6, 0x7f800000, v25
	v_cmp_ne_u32_e32 vcc, s48, v6
                                        ; implicit-def: $vgpr6
	s_and_saveexec_b64 s[74:75], vcc
	s_xor_b64 s[74:75], exec, s[74:75]
; %bb.303:                              ;   in Loop: Header=BB12_130 Depth=2
	v_bfe_u32 v6, v25, 16, 1
	v_add3_u32 v6, v25, v6, s49
                                        ; implicit-def: $vgpr25
; %bb.304:                              ;   in Loop: Header=BB12_130 Depth=2
	s_andn2_saveexec_b64 s[74:75], s[74:75]
; %bb.305:                              ;   in Loop: Header=BB12_130 Depth=2
	v_or_b32_e32 v6, 0x10000, v25
	v_cmp_eq_u32_sdwa vcc, v25, v30 src0_sel:WORD_0 src1_sel:DWORD
	v_cndmask_b32_e32 v6, v6, v25, vcc
; %bb.306:                              ;   in Loop: Header=BB12_130 Depth=2
	s_or_b64 exec, exec, s[74:75]
	v_and_b32_e32 v3, 0xffff0000, v3
	v_and_b32_e32 v7, 0xffff0000, v7
	v_add_f32_e32 v7, v3, v7
	v_and_b32_e32 v3, 0x7f800000, v7
	v_cmp_ne_u32_e32 vcc, s48, v3
                                        ; implicit-def: $vgpr3
	s_and_saveexec_b64 s[74:75], vcc
	s_xor_b64 s[74:75], exec, s[74:75]
; %bb.307:                              ;   in Loop: Header=BB12_130 Depth=2
	v_bfe_u32 v3, v7, 16, 1
	v_add3_u32 v3, v7, v3, s49
                                        ; implicit-def: $vgpr7
; %bb.308:                              ;   in Loop: Header=BB12_130 Depth=2
	s_andn2_saveexec_b64 s[74:75], s[74:75]
; %bb.309:                              ;   in Loop: Header=BB12_130 Depth=2
	v_or_b32_e32 v3, 0x10000, v7
	v_cmp_eq_u32_sdwa vcc, v7, v30 src0_sel:WORD_0 src1_sel:DWORD
	v_cndmask_b32_e32 v3, v3, v7, vcc
; %bb.310:                              ;   in Loop: Header=BB12_130 Depth=2
	s_or_b64 exec, exec, s[74:75]
	v_lshlrev_b32_e32 v7, 16, v4
	v_lshlrev_b32_e32 v25, 16, v8
	v_add_f32_e32 v25, v7, v25
	v_and_b32_e32 v7, 0x7f800000, v25
	v_cmp_ne_u32_e32 vcc, s48, v7
                                        ; implicit-def: $vgpr7
	s_and_saveexec_b64 s[74:75], vcc
	s_xor_b64 s[74:75], exec, s[74:75]
; %bb.311:                              ;   in Loop: Header=BB12_130 Depth=2
	v_bfe_u32 v7, v25, 16, 1
	v_add3_u32 v7, v25, v7, s49
                                        ; implicit-def: $vgpr25
; %bb.312:                              ;   in Loop: Header=BB12_130 Depth=2
	s_andn2_saveexec_b64 s[74:75], s[74:75]
; %bb.313:                              ;   in Loop: Header=BB12_130 Depth=2
	v_or_b32_e32 v7, 0x10000, v25
	v_cmp_eq_u32_sdwa vcc, v25, v30 src0_sel:WORD_0 src1_sel:DWORD
	v_cndmask_b32_e32 v7, v7, v25, vcc
; %bb.314:                              ;   in Loop: Header=BB12_130 Depth=2
	s_or_b64 exec, exec, s[74:75]
	v_and_b32_e32 v4, 0xffff0000, v4
	v_and_b32_e32 v8, 0xffff0000, v8
	v_add_f32_e32 v8, v4, v8
	v_and_b32_e32 v4, 0x7f800000, v8
	v_cmp_ne_u32_e32 vcc, s48, v4
                                        ; implicit-def: $vgpr4
	s_and_saveexec_b64 s[74:75], vcc
	s_xor_b64 s[74:75], exec, s[74:75]
; %bb.315:                              ;   in Loop: Header=BB12_130 Depth=2
	v_bfe_u32 v4, v8, 16, 1
	v_add3_u32 v4, v8, v4, s49
                                        ; implicit-def: $vgpr8
; %bb.316:                              ;   in Loop: Header=BB12_130 Depth=2
	s_andn2_saveexec_b64 s[74:75], s[74:75]
; %bb.317:                              ;   in Loop: Header=BB12_130 Depth=2
	v_or_b32_e32 v4, 0x10000, v8
	v_cmp_eq_u32_sdwa vcc, v8, v30 src0_sel:WORD_0 src1_sel:DWORD
	v_cndmask_b32_e32 v4, v4, v8, vcc
; %bb.318:                              ;   in Loop: Header=BB12_130 Depth=2
	s_or_b64 exec, exec, s[74:75]
	v_lshlrev_b32_e32 v8, 16, v5
	v_lshlrev_b32_e32 v25, 16, v9
	v_add_f32_e32 v25, v8, v25
	v_and_b32_e32 v8, 0x7f800000, v25
	v_cmp_ne_u32_e32 vcc, s48, v8
                                        ; implicit-def: $vgpr8
	s_and_saveexec_b64 s[74:75], vcc
	s_xor_b64 s[74:75], exec, s[74:75]
; %bb.319:                              ;   in Loop: Header=BB12_130 Depth=2
	v_bfe_u32 v8, v25, 16, 1
	v_add3_u32 v8, v25, v8, s49
                                        ; implicit-def: $vgpr25
; %bb.320:                              ;   in Loop: Header=BB12_130 Depth=2
	s_andn2_saveexec_b64 s[74:75], s[74:75]
; %bb.321:                              ;   in Loop: Header=BB12_130 Depth=2
	v_or_b32_e32 v8, 0x10000, v25
	v_cmp_eq_u32_sdwa vcc, v25, v30 src0_sel:WORD_0 src1_sel:DWORD
	v_cndmask_b32_e32 v8, v8, v25, vcc
; %bb.322:                              ;   in Loop: Header=BB12_130 Depth=2
	s_or_b64 exec, exec, s[74:75]
	v_and_b32_e32 v5, 0xffff0000, v5
	v_and_b32_e32 v9, 0xffff0000, v9
	v_add_f32_e32 v9, v5, v9
	v_and_b32_e32 v5, 0x7f800000, v9
	v_cmp_ne_u32_e32 vcc, s48, v5
                                        ; implicit-def: $vgpr5
	s_and_saveexec_b64 s[74:75], vcc
	s_xor_b64 s[74:75], exec, s[74:75]
; %bb.323:                              ;   in Loop: Header=BB12_130 Depth=2
	v_bfe_u32 v5, v9, 16, 1
	v_add3_u32 v5, v9, v5, s49
                                        ; implicit-def: $vgpr9
; %bb.324:                              ;   in Loop: Header=BB12_130 Depth=2
	s_andn2_saveexec_b64 s[74:75], s[74:75]
; %bb.325:                              ;   in Loop: Header=BB12_130 Depth=2
	v_or_b32_e32 v5, 0x10000, v9
	v_cmp_eq_u32_sdwa vcc, v9, v30 src0_sel:WORD_0 src1_sel:DWORD
	v_cndmask_b32_e32 v5, v5, v9, vcc
; %bb.326:                              ;   in Loop: Header=BB12_130 Depth=2
	s_or_b64 exec, exec, s[74:75]
	v_lshlrev_b32_e32 v9, 16, v40
	v_lshlrev_b32_e32 v25, 16, v44
	v_add_f32_e32 v25, v9, v25
	v_and_b32_e32 v9, 0x7f800000, v25
	v_cmp_ne_u32_e32 vcc, s48, v9
                                        ; implicit-def: $vgpr9
	s_and_saveexec_b64 s[74:75], vcc
	s_xor_b64 s[74:75], exec, s[74:75]
; %bb.327:                              ;   in Loop: Header=BB12_130 Depth=2
	v_bfe_u32 v9, v25, 16, 1
	v_add3_u32 v9, v25, v9, s49
                                        ; implicit-def: $vgpr25
; %bb.328:                              ;   in Loop: Header=BB12_130 Depth=2
	s_andn2_saveexec_b64 s[74:75], s[74:75]
; %bb.329:                              ;   in Loop: Header=BB12_130 Depth=2
	v_or_b32_e32 v9, 0x10000, v25
	v_cmp_eq_u32_sdwa vcc, v25, v30 src0_sel:WORD_0 src1_sel:DWORD
	v_cndmask_b32_e32 v9, v9, v25, vcc
; %bb.330:                              ;   in Loop: Header=BB12_130 Depth=2
	s_or_b64 exec, exec, s[74:75]
	v_and_b32_e32 v25, 0xffff0000, v40
	v_and_b32_e32 v31, 0xffff0000, v44
	v_add_f32_e32 v31, v25, v31
	v_and_b32_e32 v25, 0x7f800000, v31
	v_cmp_ne_u32_e32 vcc, s48, v25
                                        ; implicit-def: $vgpr25
	s_and_saveexec_b64 s[74:75], vcc
	s_xor_b64 s[74:75], exec, s[74:75]
; %bb.331:                              ;   in Loop: Header=BB12_130 Depth=2
	v_bfe_u32 v25, v31, 16, 1
	v_add3_u32 v25, v31, v25, s49
                                        ; implicit-def: $vgpr31
; %bb.332:                              ;   in Loop: Header=BB12_130 Depth=2
	s_andn2_saveexec_b64 s[74:75], s[74:75]
; %bb.333:                              ;   in Loop: Header=BB12_130 Depth=2
	v_or_b32_e32 v25, 0x10000, v31
	v_cmp_eq_u32_sdwa vcc, v31, v30 src0_sel:WORD_0 src1_sel:DWORD
	v_cndmask_b32_e32 v25, v25, v31, vcc
; %bb.334:                              ;   in Loop: Header=BB12_130 Depth=2
	s_or_b64 exec, exec, s[74:75]
	v_lshlrev_b32_e32 v31, 16, v41
	v_lshlrev_b32_e32 v32, 16, v45
	v_add_f32_e32 v31, v31, v32
	v_and_b32_e32 v32, 0x7f800000, v31
	v_cmp_ne_u32_e32 vcc, s48, v32
                                        ; implicit-def: $vgpr40
	s_and_saveexec_b64 s[74:75], vcc
	s_xor_b64 s[74:75], exec, s[74:75]
; %bb.335:                              ;   in Loop: Header=BB12_130 Depth=2
	v_bfe_u32 v32, v31, 16, 1
	v_add3_u32 v40, v31, v32, s49
                                        ; implicit-def: $vgpr31
; %bb.336:                              ;   in Loop: Header=BB12_130 Depth=2
	s_andn2_saveexec_b64 s[74:75], s[74:75]
; %bb.337:                              ;   in Loop: Header=BB12_130 Depth=2
	v_or_b32_e32 v32, 0x10000, v31
	v_cmp_eq_u32_sdwa vcc, v31, v30 src0_sel:WORD_0 src1_sel:DWORD
	v_cndmask_b32_e32 v40, v32, v31, vcc
; %bb.338:                              ;   in Loop: Header=BB12_130 Depth=2
	s_or_b64 exec, exec, s[74:75]
	v_and_b32_e32 v31, 0xffff0000, v41
	v_and_b32_e32 v32, 0xffff0000, v45
	v_add_f32_e32 v31, v31, v32
	v_and_b32_e32 v32, 0x7f800000, v31
	v_cmp_ne_u32_e32 vcc, s48, v32
                                        ; implicit-def: $vgpr41
	s_and_saveexec_b64 s[74:75], vcc
	s_xor_b64 s[74:75], exec, s[74:75]
; %bb.339:                              ;   in Loop: Header=BB12_130 Depth=2
	v_bfe_u32 v32, v31, 16, 1
	v_add3_u32 v41, v31, v32, s49
                                        ; implicit-def: $vgpr31
; %bb.340:                              ;   in Loop: Header=BB12_130 Depth=2
	s_andn2_saveexec_b64 s[74:75], s[74:75]
; %bb.341:                              ;   in Loop: Header=BB12_130 Depth=2
	v_or_b32_e32 v32, 0x10000, v31
	v_cmp_eq_u32_sdwa vcc, v31, v30 src0_sel:WORD_0 src1_sel:DWORD
	v_cndmask_b32_e32 v41, v32, v31, vcc
; %bb.342:                              ;   in Loop: Header=BB12_130 Depth=2
	s_or_b64 exec, exec, s[74:75]
	v_lshlrev_b32_e32 v31, 16, v42
	v_lshlrev_b32_e32 v32, 16, v46
	v_add_f32_e32 v31, v31, v32
	v_and_b32_e32 v32, 0x7f800000, v31
	v_cmp_ne_u32_e32 vcc, s48, v32
                                        ; implicit-def: $vgpr44
	s_and_saveexec_b64 s[74:75], vcc
	s_xor_b64 s[74:75], exec, s[74:75]
; %bb.343:                              ;   in Loop: Header=BB12_130 Depth=2
	v_bfe_u32 v32, v31, 16, 1
	v_add3_u32 v44, v31, v32, s49
                                        ; implicit-def: $vgpr31
; %bb.344:                              ;   in Loop: Header=BB12_130 Depth=2
	s_andn2_saveexec_b64 s[74:75], s[74:75]
; %bb.345:                              ;   in Loop: Header=BB12_130 Depth=2
	v_or_b32_e32 v32, 0x10000, v31
	v_cmp_eq_u32_sdwa vcc, v31, v30 src0_sel:WORD_0 src1_sel:DWORD
	v_cndmask_b32_e32 v44, v32, v31, vcc
; %bb.346:                              ;   in Loop: Header=BB12_130 Depth=2
	s_or_b64 exec, exec, s[74:75]
	v_and_b32_e32 v31, 0xffff0000, v42
	v_and_b32_e32 v32, 0xffff0000, v46
	v_add_f32_e32 v31, v31, v32
	v_and_b32_e32 v32, 0x7f800000, v31
	v_cmp_ne_u32_e32 vcc, s48, v32
                                        ; implicit-def: $vgpr42
	s_and_saveexec_b64 s[74:75], vcc
	s_xor_b64 s[74:75], exec, s[74:75]
; %bb.347:                              ;   in Loop: Header=BB12_130 Depth=2
	v_bfe_u32 v32, v31, 16, 1
	v_add3_u32 v42, v31, v32, s49
                                        ; implicit-def: $vgpr31
; %bb.348:                              ;   in Loop: Header=BB12_130 Depth=2
	s_andn2_saveexec_b64 s[74:75], s[74:75]
; %bb.349:                              ;   in Loop: Header=BB12_130 Depth=2
	v_or_b32_e32 v32, 0x10000, v31
	v_cmp_eq_u32_sdwa vcc, v31, v30 src0_sel:WORD_0 src1_sel:DWORD
	v_cndmask_b32_e32 v42, v32, v31, vcc
; %bb.350:                              ;   in Loop: Header=BB12_130 Depth=2
	s_or_b64 exec, exec, s[74:75]
	v_lshlrev_b32_e32 v31, 16, v43
	v_lshlrev_b32_e32 v32, 16, v47
	v_add_f32_e32 v31, v31, v32
	v_and_b32_e32 v32, 0x7f800000, v31
	v_cmp_ne_u32_e32 vcc, s48, v32
                                        ; implicit-def: $vgpr45
	s_and_saveexec_b64 s[74:75], vcc
	s_xor_b64 s[74:75], exec, s[74:75]
; %bb.351:                              ;   in Loop: Header=BB12_130 Depth=2
	v_bfe_u32 v32, v31, 16, 1
	v_add3_u32 v45, v31, v32, s49
                                        ; implicit-def: $vgpr31
; %bb.352:                              ;   in Loop: Header=BB12_130 Depth=2
	s_andn2_saveexec_b64 s[74:75], s[74:75]
; %bb.353:                              ;   in Loop: Header=BB12_130 Depth=2
	v_or_b32_e32 v32, 0x10000, v31
	v_cmp_eq_u32_sdwa vcc, v31, v30 src0_sel:WORD_0 src1_sel:DWORD
	v_cndmask_b32_e32 v45, v32, v31, vcc
; %bb.354:                              ;   in Loop: Header=BB12_130 Depth=2
	s_or_b64 exec, exec, s[74:75]
	v_and_b32_e32 v31, 0xffff0000, v43
	v_and_b32_e32 v32, 0xffff0000, v47
	v_add_f32_e32 v31, v31, v32
	v_and_b32_e32 v32, 0x7f800000, v31
	v_cmp_ne_u32_e32 vcc, s48, v32
                                        ; implicit-def: $vgpr43
	s_and_saveexec_b64 s[74:75], vcc
	s_xor_b64 s[74:75], exec, s[74:75]
; %bb.355:                              ;   in Loop: Header=BB12_130 Depth=2
	v_bfe_u32 v32, v31, 16, 1
	v_add3_u32 v43, v31, v32, s49
                                        ; implicit-def: $vgpr31
; %bb.356:                              ;   in Loop: Header=BB12_130 Depth=2
	s_andn2_saveexec_b64 s[74:75], s[74:75]
; %bb.357:                              ;   in Loop: Header=BB12_130 Depth=2
	v_or_b32_e32 v32, 0x10000, v31
	v_cmp_eq_u32_sdwa vcc, v31, v30 src0_sel:WORD_0 src1_sel:DWORD
	v_cndmask_b32_e32 v43, v32, v31, vcc
; %bb.358:                              ;   in Loop: Header=BB12_130 Depth=2
	s_or_b64 exec, exec, s[74:75]
	v_lshlrev_b32_e32 v31, 16, v48
	v_lshlrev_b32_e32 v32, 16, v52
	v_add_f32_e32 v31, v31, v32
	v_and_b32_e32 v32, 0x7f800000, v31
	v_cmp_ne_u32_e32 vcc, s48, v32
                                        ; implicit-def: $vgpr46
	s_and_saveexec_b64 s[74:75], vcc
	s_xor_b64 s[74:75], exec, s[74:75]
; %bb.359:                              ;   in Loop: Header=BB12_130 Depth=2
	v_bfe_u32 v32, v31, 16, 1
	v_add3_u32 v46, v31, v32, s49
                                        ; implicit-def: $vgpr31
; %bb.360:                              ;   in Loop: Header=BB12_130 Depth=2
	s_andn2_saveexec_b64 s[74:75], s[74:75]
; %bb.361:                              ;   in Loop: Header=BB12_130 Depth=2
	v_or_b32_e32 v32, 0x10000, v31
	v_cmp_eq_u32_sdwa vcc, v31, v30 src0_sel:WORD_0 src1_sel:DWORD
	v_cndmask_b32_e32 v46, v32, v31, vcc
; %bb.362:                              ;   in Loop: Header=BB12_130 Depth=2
	s_or_b64 exec, exec, s[74:75]
	v_and_b32_e32 v31, 0xffff0000, v48
	v_and_b32_e32 v32, 0xffff0000, v52
	v_add_f32_e32 v31, v31, v32
	v_and_b32_e32 v32, 0x7f800000, v31
	v_cmp_ne_u32_e32 vcc, s48, v32
                                        ; implicit-def: $vgpr48
	s_and_saveexec_b64 s[74:75], vcc
	s_xor_b64 s[74:75], exec, s[74:75]
; %bb.363:                              ;   in Loop: Header=BB12_130 Depth=2
	v_bfe_u32 v32, v31, 16, 1
	v_add3_u32 v48, v31, v32, s49
                                        ; implicit-def: $vgpr31
; %bb.364:                              ;   in Loop: Header=BB12_130 Depth=2
	s_andn2_saveexec_b64 s[74:75], s[74:75]
; %bb.365:                              ;   in Loop: Header=BB12_130 Depth=2
	v_or_b32_e32 v32, 0x10000, v31
	v_cmp_eq_u32_sdwa vcc, v31, v30 src0_sel:WORD_0 src1_sel:DWORD
	v_cndmask_b32_e32 v48, v32, v31, vcc
; %bb.366:                              ;   in Loop: Header=BB12_130 Depth=2
	s_or_b64 exec, exec, s[74:75]
	v_lshlrev_b32_e32 v31, 16, v49
	v_lshlrev_b32_e32 v32, 16, v53
	v_add_f32_e32 v32, v31, v32
	v_and_b32_e32 v31, 0x7f800000, v32
	v_cmp_ne_u32_e32 vcc, s48, v31
                                        ; implicit-def: $vgpr31
	s_and_saveexec_b64 s[74:75], vcc
	s_xor_b64 s[74:75], exec, s[74:75]
; %bb.367:                              ;   in Loop: Header=BB12_130 Depth=2
	v_bfe_u32 v31, v32, 16, 1
	v_add3_u32 v31, v32, v31, s49
                                        ; implicit-def: $vgpr32
; %bb.368:                              ;   in Loop: Header=BB12_130 Depth=2
	s_andn2_saveexec_b64 s[74:75], s[74:75]
; %bb.369:                              ;   in Loop: Header=BB12_130 Depth=2
	v_or_b32_e32 v31, 0x10000, v32
	v_cmp_eq_u32_sdwa vcc, v32, v30 src0_sel:WORD_0 src1_sel:DWORD
	v_cndmask_b32_e32 v31, v31, v32, vcc
; %bb.370:                              ;   in Loop: Header=BB12_130 Depth=2
	s_or_b64 exec, exec, s[74:75]
	v_and_b32_e32 v32, 0xffff0000, v49
	v_and_b32_e32 v33, 0xffff0000, v53
	v_add_f32_e32 v32, v32, v33
	v_and_b32_e32 v33, 0x7f800000, v32
	v_cmp_ne_u32_e32 vcc, s48, v33
                                        ; implicit-def: $vgpr49
	s_and_saveexec_b64 s[74:75], vcc
	s_xor_b64 s[74:75], exec, s[74:75]
; %bb.371:                              ;   in Loop: Header=BB12_130 Depth=2
	v_bfe_u32 v33, v32, 16, 1
	v_add3_u32 v49, v32, v33, s49
                                        ; implicit-def: $vgpr32
; %bb.372:                              ;   in Loop: Header=BB12_130 Depth=2
	s_andn2_saveexec_b64 s[74:75], s[74:75]
; %bb.373:                              ;   in Loop: Header=BB12_130 Depth=2
	v_or_b32_e32 v33, 0x10000, v32
	v_cmp_eq_u32_sdwa vcc, v32, v30 src0_sel:WORD_0 src1_sel:DWORD
	v_cndmask_b32_e32 v49, v33, v32, vcc
; %bb.374:                              ;   in Loop: Header=BB12_130 Depth=2
	s_or_b64 exec, exec, s[74:75]
	v_lshlrev_b32_e32 v32, 16, v50
	v_lshlrev_b32_e32 v33, 16, v54
	v_add_f32_e32 v32, v32, v33
	v_and_b32_e32 v33, 0x7f800000, v32
	v_cmp_ne_u32_e32 vcc, s48, v33
                                        ; implicit-def: $vgpr52
	s_and_saveexec_b64 s[74:75], vcc
	s_xor_b64 s[74:75], exec, s[74:75]
; %bb.375:                              ;   in Loop: Header=BB12_130 Depth=2
	v_bfe_u32 v33, v32, 16, 1
	v_add3_u32 v52, v32, v33, s49
                                        ; implicit-def: $vgpr32
; %bb.376:                              ;   in Loop: Header=BB12_130 Depth=2
	s_andn2_saveexec_b64 s[74:75], s[74:75]
; %bb.377:                              ;   in Loop: Header=BB12_130 Depth=2
	v_or_b32_e32 v33, 0x10000, v32
	v_cmp_eq_u32_sdwa vcc, v32, v30 src0_sel:WORD_0 src1_sel:DWORD
	v_cndmask_b32_e32 v52, v33, v32, vcc
; %bb.378:                              ;   in Loop: Header=BB12_130 Depth=2
	s_or_b64 exec, exec, s[74:75]
	v_and_b32_e32 v32, 0xffff0000, v50
	v_and_b32_e32 v33, 0xffff0000, v54
	v_add_f32_e32 v32, v32, v33
	v_and_b32_e32 v33, 0x7f800000, v32
	v_cmp_ne_u32_e32 vcc, s48, v33
                                        ; implicit-def: $vgpr50
	s_and_saveexec_b64 s[74:75], vcc
	s_xor_b64 s[74:75], exec, s[74:75]
; %bb.379:                              ;   in Loop: Header=BB12_130 Depth=2
	v_bfe_u32 v33, v32, 16, 1
	v_add3_u32 v50, v32, v33, s49
                                        ; implicit-def: $vgpr32
; %bb.380:                              ;   in Loop: Header=BB12_130 Depth=2
	s_andn2_saveexec_b64 s[74:75], s[74:75]
; %bb.381:                              ;   in Loop: Header=BB12_130 Depth=2
	v_or_b32_e32 v33, 0x10000, v32
	v_cmp_eq_u32_sdwa vcc, v32, v30 src0_sel:WORD_0 src1_sel:DWORD
	v_cndmask_b32_e32 v50, v33, v32, vcc
; %bb.382:                              ;   in Loop: Header=BB12_130 Depth=2
	s_or_b64 exec, exec, s[74:75]
	v_lshlrev_b32_e32 v32, 16, v51
	v_lshlrev_b32_e32 v33, 16, v55
	v_add_f32_e32 v33, v32, v33
	v_and_b32_e32 v32, 0x7f800000, v33
	v_cmp_ne_u32_e32 vcc, s48, v32
                                        ; implicit-def: $vgpr32
	s_and_saveexec_b64 s[74:75], vcc
	s_xor_b64 s[74:75], exec, s[74:75]
; %bb.383:                              ;   in Loop: Header=BB12_130 Depth=2
	v_bfe_u32 v32, v33, 16, 1
	v_add3_u32 v32, v33, v32, s49
                                        ; implicit-def: $vgpr33
; %bb.384:                              ;   in Loop: Header=BB12_130 Depth=2
	s_andn2_saveexec_b64 s[74:75], s[74:75]
; %bb.385:                              ;   in Loop: Header=BB12_130 Depth=2
	v_or_b32_e32 v32, 0x10000, v33
	v_cmp_eq_u32_sdwa vcc, v33, v30 src0_sel:WORD_0 src1_sel:DWORD
	v_cndmask_b32_e32 v32, v32, v33, vcc
; %bb.386:                              ;   in Loop: Header=BB12_130 Depth=2
	s_or_b64 exec, exec, s[74:75]
	v_and_b32_e32 v33, 0xffff0000, v51
	v_and_b32_e32 v34, 0xffff0000, v55
	v_add_f32_e32 v34, v33, v34
	v_and_b32_e32 v33, 0x7f800000, v34
	v_cmp_ne_u32_e32 vcc, s48, v33
                                        ; implicit-def: $vgpr33
	s_and_saveexec_b64 s[74:75], vcc
	s_xor_b64 s[74:75], exec, s[74:75]
; %bb.387:                              ;   in Loop: Header=BB12_130 Depth=2
	v_bfe_u32 v33, v34, 16, 1
	v_add3_u32 v33, v34, v33, s49
                                        ; implicit-def: $vgpr34
; %bb.388:                              ;   in Loop: Header=BB12_130 Depth=2
	s_andn2_saveexec_b64 s[74:75], s[74:75]
; %bb.389:                              ;   in Loop: Header=BB12_130 Depth=2
	v_or_b32_e32 v33, 0x10000, v34
	v_cmp_eq_u32_sdwa vcc, v34, v30 src0_sel:WORD_0 src1_sel:DWORD
	v_cndmask_b32_e32 v33, v33, v34, vcc
; %bb.390:                              ;   in Loop: Header=BB12_130 Depth=2
	s_or_b64 exec, exec, s[74:75]
	v_lshrrev_b32_e32 v6, 16, v6
	v_and_or_b32 v3, v3, s50, v6
	v_lshrrev_b32_e32 v6, 16, v21
	v_and_or_b32 v2, v2, s50, v6
	v_lshrrev_b32_e32 v6, 16, v7
	v_lshrrev_b32_e32 v9, 16, v9
	v_and_or_b32 v4, v4, s50, v6
	v_lshrrev_b32_e32 v6, 16, v8
	;; [unrolled: 3-line block ×3, first 2 shown]
	v_and_or_b32 v5, v5, s50, v6
	v_lshrrev_b32_e32 v6, 16, v18
	v_and_or_b32 v42, v42, s50, v9
	v_lshrrev_b32_e32 v9, 16, v45
	;; [unrolled: 2-line block ×3, first 2 shown]
	v_and_or_b32 v43, v43, s50, v9
	v_and_or_b32 v6, v10, s50, v6
	v_lshrrev_b32_e32 v8, 16, v19
	v_lshrrev_b32_e32 v9, 16, v20
	;; [unrolled: 1-line block ×3, first 2 shown]
	v_and_or_b32 v8, v12, s50, v8
	v_and_or_b32 v9, v13, s50, v9
	;; [unrolled: 1-line block ×3, first 2 shown]
	v_lshrrev_b32_e32 v10, 16, v46
	v_lshrrev_b32_e32 v12, 16, v52
	;; [unrolled: 1-line block ×3, first 2 shown]
	v_and_or_b32 v41, v41, s50, v34
	v_and_or_b32 v10, v48, s50, v10
	;; [unrolled: 1-line block ×4, first 2 shown]
	global_store_dwordx4 v[0:1], v[6:9], off glc slc
	global_store_dwordx4 v[0:1], v[2:5], off offset:1024 glc slc
	global_store_dwordx4 v[0:1], v[40:43], off offset:2048 glc slc
	;; [unrolled: 1-line block ×3, first 2 shown]
	v_add_co_u32_e32 v0, vcc, 0x1000, v0
	v_addc_co_u32_e32 v1, vcc, 0, v1, vcc
	s_and_saveexec_b64 s[74:75], s[72:73]
	s_cbranch_execz .LBB12_129
; %bb.391:                              ;   in Loop: Header=BB12_130 Depth=2
	buffer_load_dword v2, off, s[0:3], s33 offset:232 ; 4-byte Folded Reload
	buffer_load_dword v3, off, s[0:3], s33 offset:248 ; 4-byte Folded Reload
	s_waitcnt vmcnt(0)
	v_sub_u32_e32 v3, v3, v2
	buffer_load_dword v2, off, s[0:3], s33 offset:424 ; 4-byte Folded Reload
	s_nop 0
	buffer_store_dword v3, off, s[0:3], s33 offset:248 ; 4-byte Folded Spill
	buffer_load_dword v3, off, s[0:3], s33 offset:428 ; 4-byte Folded Reload
	s_waitcnt vmcnt(2)
	v_add_co_u32_e32 v0, vcc, v0, v2
	s_waitcnt vmcnt(0)
	v_addc_co_u32_e32 v1, vcc, v1, v3, vcc
	v_add_co_u32_e32 v60, vcc, v60, v2
	v_addc_co_u32_e32 v61, vcc, v61, v3, vcc
	v_add_co_u32_e32 v22, vcc, v22, v2
	v_addc_co_u32_e32 v23, vcc, v23, v3, vcc
	s_branch .LBB12_129
.LBB12_392:                             ;   in Loop: Header=BB12_49 Depth=1
	buffer_load_dword v7, off, s[0:3], s33 offset:508 ; 4-byte Folded Reload
	v_mov_b32_e32 v0, v40
	s_and_saveexec_b64 s[22:23], s[60:61]
	s_cbranch_execnz .LBB12_640
	s_branch .LBB12_867
.LBB12_393:                             ;   in Loop: Header=BB12_49 Depth=1
	s_or_b64 exec, exec, s[22:23]
	buffer_load_dword v53, off, s[0:3], s33 offset:456 ; 4-byte Folded Reload
	buffer_load_dword v50, off, s[0:3], s33 offset:520 ; 4-byte Folded Reload
	;; [unrolled: 1-line block ×15, first 2 shown]
	s_and_b64 s[22:23], s[62:63], exec
	v_mov_b32_e32 v51, 1
	v_mov_b32_e32 v52, 0xc8
	;; [unrolled: 1-line block ×3, first 2 shown]
.LBB12_394:                             ;   in Loop: Header=BB12_49 Depth=1
	s_or_b64 exec, exec, s[20:21]
	s_and_saveexec_b64 s[20:21], s[22:23]
	s_cbranch_execz .LBB12_524
; %bb.395:                              ;   in Loop: Header=BB12_49 Depth=1
	buffer_load_dword v3, off, s[0:3], s33 offset:216 ; 4-byte Folded Reload
	buffer_load_dword v4, off, s[0:3], s33 offset:220 ; 4-byte Folded Reload
	;; [unrolled: 1-line block ×4, first 2 shown]
	v_lshlrev_b32_e32 v2, 16, v56
	s_waitcnt vmcnt(3)
	v_lshlrev_b32_e32 v3, 16, v3
	v_add_f32_e32 v3, v3, v2
	v_and_b32_e32 v2, 0x7f800000, v3
	v_cmp_ne_u32_e32 vcc, s48, v2
                                        ; implicit-def: $vgpr2
	s_and_saveexec_b64 s[22:23], vcc
	s_xor_b64 s[22:23], exec, s[22:23]
; %bb.396:                              ;   in Loop: Header=BB12_49 Depth=1
	v_bfe_u32 v2, v3, 16, 1
	v_add3_u32 v2, v3, v2, s49
                                        ; implicit-def: $vgpr3
; %bb.397:                              ;   in Loop: Header=BB12_49 Depth=1
	s_andn2_saveexec_b64 s[22:23], s[22:23]
; %bb.398:                              ;   in Loop: Header=BB12_49 Depth=1
	v_or_b32_e32 v2, 0x10000, v3
	v_cmp_eq_u32_sdwa vcc, v3, v30 src0_sel:WORD_0 src1_sel:DWORD
	v_cndmask_b32_e32 v2, v2, v3, vcc
; %bb.399:                              ;   in Loop: Header=BB12_49 Depth=1
	s_or_b64 exec, exec, s[22:23]
	buffer_load_dword v4, off, s[0:3], s33 offset:216 ; 4-byte Folded Reload
	buffer_load_dword v5, off, s[0:3], s33 offset:220 ; 4-byte Folded Reload
	;; [unrolled: 1-line block ×4, first 2 shown]
	v_and_b32_e32 v3, 0xffff0000, v56
	s_waitcnt vmcnt(3)
	v_and_b32_e32 v4, 0xffff0000, v4
	v_add_f32_e32 v4, v4, v3
	v_and_b32_e32 v3, 0x7f800000, v4
	v_cmp_ne_u32_e32 vcc, s48, v3
                                        ; implicit-def: $vgpr3
	s_and_saveexec_b64 s[22:23], vcc
	s_xor_b64 s[22:23], exec, s[22:23]
; %bb.400:                              ;   in Loop: Header=BB12_49 Depth=1
	v_bfe_u32 v3, v4, 16, 1
	v_add3_u32 v3, v4, v3, s49
                                        ; implicit-def: $vgpr4
; %bb.401:                              ;   in Loop: Header=BB12_49 Depth=1
	s_andn2_saveexec_b64 s[22:23], s[22:23]
; %bb.402:                              ;   in Loop: Header=BB12_49 Depth=1
	v_or_b32_e32 v3, 0x10000, v4
	v_cmp_eq_u32_sdwa vcc, v4, v30 src0_sel:WORD_0 src1_sel:DWORD
	v_cndmask_b32_e32 v3, v3, v4, vcc
; %bb.403:                              ;   in Loop: Header=BB12_49 Depth=1
	s_or_b64 exec, exec, s[22:23]
	buffer_load_dword v5, off, s[0:3], s33 offset:216 ; 4-byte Folded Reload
	buffer_load_dword v6, off, s[0:3], s33 offset:220 ; 4-byte Folded Reload
	;; [unrolled: 1-line block ×4, first 2 shown]
	v_lshlrev_b32_e32 v4, 16, v57
	s_waitcnt vmcnt(2)
	v_lshlrev_b32_e32 v5, 16, v6
	v_add_f32_e32 v5, v5, v4
	v_and_b32_e32 v4, 0x7f800000, v5
	v_cmp_ne_u32_e32 vcc, s48, v4
                                        ; implicit-def: $vgpr4
	s_and_saveexec_b64 s[22:23], vcc
	s_xor_b64 s[22:23], exec, s[22:23]
; %bb.404:                              ;   in Loop: Header=BB12_49 Depth=1
	v_bfe_u32 v4, v5, 16, 1
	v_add3_u32 v4, v5, v4, s49
                                        ; implicit-def: $vgpr5
; %bb.405:                              ;   in Loop: Header=BB12_49 Depth=1
	s_andn2_saveexec_b64 s[22:23], s[22:23]
; %bb.406:                              ;   in Loop: Header=BB12_49 Depth=1
	v_or_b32_e32 v4, 0x10000, v5
	v_cmp_eq_u32_sdwa vcc, v5, v30 src0_sel:WORD_0 src1_sel:DWORD
	v_cndmask_b32_e32 v4, v4, v5, vcc
; %bb.407:                              ;   in Loop: Header=BB12_49 Depth=1
	s_or_b64 exec, exec, s[22:23]
	buffer_load_dword v6, off, s[0:3], s33 offset:216 ; 4-byte Folded Reload
	buffer_load_dword v7, off, s[0:3], s33 offset:220 ; 4-byte Folded Reload
	;; [unrolled: 1-line block ×4, first 2 shown]
	v_and_b32_e32 v5, 0xffff0000, v57
	s_waitcnt vmcnt(2)
	v_and_b32_e32 v6, 0xffff0000, v7
	v_add_f32_e32 v6, v6, v5
	v_and_b32_e32 v5, 0x7f800000, v6
	v_cmp_ne_u32_e32 vcc, s48, v5
                                        ; implicit-def: $vgpr5
	s_and_saveexec_b64 s[22:23], vcc
	s_xor_b64 s[22:23], exec, s[22:23]
; %bb.408:                              ;   in Loop: Header=BB12_49 Depth=1
	v_bfe_u32 v5, v6, 16, 1
	v_add3_u32 v5, v6, v5, s49
                                        ; implicit-def: $vgpr6
; %bb.409:                              ;   in Loop: Header=BB12_49 Depth=1
	s_andn2_saveexec_b64 s[22:23], s[22:23]
; %bb.410:                              ;   in Loop: Header=BB12_49 Depth=1
	v_or_b32_e32 v5, 0x10000, v6
	v_cmp_eq_u32_sdwa vcc, v6, v30 src0_sel:WORD_0 src1_sel:DWORD
	v_cndmask_b32_e32 v5, v5, v6, vcc
; %bb.411:                              ;   in Loop: Header=BB12_49 Depth=1
	s_or_b64 exec, exec, s[22:23]
	buffer_load_dword v7, off, s[0:3], s33 offset:216 ; 4-byte Folded Reload
	buffer_load_dword v8, off, s[0:3], s33 offset:220 ; 4-byte Folded Reload
	;; [unrolled: 1-line block ×4, first 2 shown]
	v_lshlrev_b32_e32 v6, 16, v58
	s_waitcnt vmcnt(1)
	v_lshlrev_b32_e32 v7, 16, v9
	v_add_f32_e32 v7, v7, v6
	v_and_b32_e32 v6, 0x7f800000, v7
	v_cmp_ne_u32_e32 vcc, s48, v6
                                        ; implicit-def: $vgpr6
	s_and_saveexec_b64 s[22:23], vcc
	s_xor_b64 s[22:23], exec, s[22:23]
; %bb.412:                              ;   in Loop: Header=BB12_49 Depth=1
	v_bfe_u32 v6, v7, 16, 1
	v_add3_u32 v6, v7, v6, s49
                                        ; implicit-def: $vgpr7
; %bb.413:                              ;   in Loop: Header=BB12_49 Depth=1
	s_andn2_saveexec_b64 s[22:23], s[22:23]
; %bb.414:                              ;   in Loop: Header=BB12_49 Depth=1
	v_or_b32_e32 v6, 0x10000, v7
	v_cmp_eq_u32_sdwa vcc, v7, v30 src0_sel:WORD_0 src1_sel:DWORD
	v_cndmask_b32_e32 v6, v6, v7, vcc
; %bb.415:                              ;   in Loop: Header=BB12_49 Depth=1
	s_or_b64 exec, exec, s[22:23]
	buffer_load_dword v8, off, s[0:3], s33 offset:216 ; 4-byte Folded Reload
	buffer_load_dword v9, off, s[0:3], s33 offset:220 ; 4-byte Folded Reload
	;; [unrolled: 1-line block ×4, first 2 shown]
	v_and_b32_e32 v7, 0xffff0000, v58
	s_waitcnt vmcnt(1)
	v_and_b32_e32 v8, 0xffff0000, v10
	v_add_f32_e32 v8, v8, v7
	v_and_b32_e32 v7, 0x7f800000, v8
	v_cmp_ne_u32_e32 vcc, s48, v7
                                        ; implicit-def: $vgpr7
	s_and_saveexec_b64 s[22:23], vcc
	s_xor_b64 s[22:23], exec, s[22:23]
; %bb.416:                              ;   in Loop: Header=BB12_49 Depth=1
	v_bfe_u32 v7, v8, 16, 1
	v_add3_u32 v7, v8, v7, s49
                                        ; implicit-def: $vgpr8
; %bb.417:                              ;   in Loop: Header=BB12_49 Depth=1
	s_andn2_saveexec_b64 s[22:23], s[22:23]
; %bb.418:                              ;   in Loop: Header=BB12_49 Depth=1
	v_or_b32_e32 v7, 0x10000, v8
	v_cmp_eq_u32_sdwa vcc, v8, v30 src0_sel:WORD_0 src1_sel:DWORD
	v_cndmask_b32_e32 v7, v7, v8, vcc
; %bb.419:                              ;   in Loop: Header=BB12_49 Depth=1
	s_or_b64 exec, exec, s[22:23]
	buffer_load_dword v9, off, s[0:3], s33 offset:216 ; 4-byte Folded Reload
	buffer_load_dword v10, off, s[0:3], s33 offset:220 ; 4-byte Folded Reload
	;; [unrolled: 1-line block ×4, first 2 shown]
	v_lshlrev_b32_e32 v8, 16, v59
	s_waitcnt vmcnt(0)
	v_lshlrev_b32_e32 v9, 16, v12
	v_add_f32_e32 v9, v9, v8
	v_and_b32_e32 v8, 0x7f800000, v9
	v_cmp_ne_u32_e32 vcc, s48, v8
                                        ; implicit-def: $vgpr8
	s_and_saveexec_b64 s[22:23], vcc
	s_xor_b64 s[22:23], exec, s[22:23]
; %bb.420:                              ;   in Loop: Header=BB12_49 Depth=1
	v_bfe_u32 v8, v9, 16, 1
	v_add3_u32 v8, v9, v8, s49
                                        ; implicit-def: $vgpr9
; %bb.421:                              ;   in Loop: Header=BB12_49 Depth=1
	s_andn2_saveexec_b64 s[22:23], s[22:23]
; %bb.422:                              ;   in Loop: Header=BB12_49 Depth=1
	v_or_b32_e32 v8, 0x10000, v9
	v_cmp_eq_u32_sdwa vcc, v9, v30 src0_sel:WORD_0 src1_sel:DWORD
	v_cndmask_b32_e32 v8, v8, v9, vcc
; %bb.423:                              ;   in Loop: Header=BB12_49 Depth=1
	s_or_b64 exec, exec, s[22:23]
	buffer_load_dword v10, off, s[0:3], s33 offset:216 ; 4-byte Folded Reload
	buffer_load_dword v11, off, s[0:3], s33 offset:220 ; 4-byte Folded Reload
	;; [unrolled: 1-line block ×4, first 2 shown]
	v_and_b32_e32 v9, 0xffff0000, v59
	s_waitcnt vmcnt(0)
	v_and_b32_e32 v10, 0xffff0000, v13
	v_add_f32_e32 v10, v10, v9
	v_and_b32_e32 v9, 0x7f800000, v10
	v_cmp_ne_u32_e32 vcc, s48, v9
                                        ; implicit-def: $vgpr9
	s_and_saveexec_b64 s[22:23], vcc
	s_xor_b64 s[22:23], exec, s[22:23]
; %bb.424:                              ;   in Loop: Header=BB12_49 Depth=1
	v_bfe_u32 v9, v10, 16, 1
	v_add3_u32 v9, v10, v9, s49
                                        ; implicit-def: $vgpr10
; %bb.425:                              ;   in Loop: Header=BB12_49 Depth=1
	s_andn2_saveexec_b64 s[22:23], s[22:23]
; %bb.426:                              ;   in Loop: Header=BB12_49 Depth=1
	v_or_b32_e32 v9, 0x10000, v10
	v_cmp_eq_u32_sdwa vcc, v10, v30 src0_sel:WORD_0 src1_sel:DWORD
	v_cndmask_b32_e32 v9, v9, v10, vcc
; %bb.427:                              ;   in Loop: Header=BB12_49 Depth=1
	s_or_b64 exec, exec, s[22:23]
	buffer_load_dword v18, off, s[0:3], s33 offset:200 ; 4-byte Folded Reload
	buffer_load_dword v19, off, s[0:3], s33 offset:204 ; 4-byte Folded Reload
	;; [unrolled: 1-line block ×4, first 2 shown]
	v_lshlrev_b32_e32 v10, 16, v36
	s_waitcnt vmcnt(3)
	v_lshlrev_b32_e32 v11, 16, v18
	v_add_f32_e32 v11, v11, v10
	v_and_b32_e32 v10, 0x7f800000, v11
	v_cmp_ne_u32_e32 vcc, s48, v10
                                        ; implicit-def: $vgpr10
	s_and_saveexec_b64 s[22:23], vcc
	s_xor_b64 s[22:23], exec, s[22:23]
; %bb.428:                              ;   in Loop: Header=BB12_49 Depth=1
	v_bfe_u32 v10, v11, 16, 1
	v_add3_u32 v10, v11, v10, s49
                                        ; implicit-def: $vgpr11
; %bb.429:                              ;   in Loop: Header=BB12_49 Depth=1
	s_andn2_saveexec_b64 s[22:23], s[22:23]
; %bb.430:                              ;   in Loop: Header=BB12_49 Depth=1
	v_or_b32_e32 v10, 0x10000, v11
	v_cmp_eq_u32_sdwa vcc, v11, v30 src0_sel:WORD_0 src1_sel:DWORD
	v_cndmask_b32_e32 v10, v10, v11, vcc
; %bb.431:                              ;   in Loop: Header=BB12_49 Depth=1
	s_or_b64 exec, exec, s[22:23]
	buffer_load_dword v18, off, s[0:3], s33 offset:200 ; 4-byte Folded Reload
	buffer_load_dword v19, off, s[0:3], s33 offset:204 ; 4-byte Folded Reload
	;; [unrolled: 1-line block ×4, first 2 shown]
	v_and_b32_e32 v11, 0xffff0000, v36
	s_waitcnt vmcnt(3)
	v_and_b32_e32 v12, 0xffff0000, v18
	v_add_f32_e32 v12, v12, v11
	v_and_b32_e32 v11, 0x7f800000, v12
	v_cmp_ne_u32_e32 vcc, s48, v11
                                        ; implicit-def: $vgpr11
	s_and_saveexec_b64 s[22:23], vcc
	s_xor_b64 s[22:23], exec, s[22:23]
; %bb.432:                              ;   in Loop: Header=BB12_49 Depth=1
	v_bfe_u32 v11, v12, 16, 1
	v_add3_u32 v11, v12, v11, s49
                                        ; implicit-def: $vgpr12
; %bb.433:                              ;   in Loop: Header=BB12_49 Depth=1
	s_andn2_saveexec_b64 s[22:23], s[22:23]
; %bb.434:                              ;   in Loop: Header=BB12_49 Depth=1
	v_or_b32_e32 v11, 0x10000, v12
	v_cmp_eq_u32_sdwa vcc, v12, v30 src0_sel:WORD_0 src1_sel:DWORD
	v_cndmask_b32_e32 v11, v11, v12, vcc
; %bb.435:                              ;   in Loop: Header=BB12_49 Depth=1
	s_or_b64 exec, exec, s[22:23]
	buffer_load_dword v18, off, s[0:3], s33 offset:200 ; 4-byte Folded Reload
	buffer_load_dword v19, off, s[0:3], s33 offset:204 ; 4-byte Folded Reload
	;; [unrolled: 1-line block ×4, first 2 shown]
	v_lshlrev_b32_e32 v12, 16, v37
	s_waitcnt vmcnt(2)
	v_lshlrev_b32_e32 v13, 16, v19
	v_add_f32_e32 v13, v13, v12
	v_and_b32_e32 v12, 0x7f800000, v13
	v_cmp_ne_u32_e32 vcc, s48, v12
                                        ; implicit-def: $vgpr12
	s_and_saveexec_b64 s[22:23], vcc
	s_xor_b64 s[22:23], exec, s[22:23]
; %bb.436:                              ;   in Loop: Header=BB12_49 Depth=1
	v_bfe_u32 v12, v13, 16, 1
	v_add3_u32 v12, v13, v12, s49
                                        ; implicit-def: $vgpr13
; %bb.437:                              ;   in Loop: Header=BB12_49 Depth=1
	s_andn2_saveexec_b64 s[22:23], s[22:23]
; %bb.438:                              ;   in Loop: Header=BB12_49 Depth=1
	v_or_b32_e32 v12, 0x10000, v13
	v_cmp_eq_u32_sdwa vcc, v13, v30 src0_sel:WORD_0 src1_sel:DWORD
	v_cndmask_b32_e32 v12, v12, v13, vcc
; %bb.439:                              ;   in Loop: Header=BB12_49 Depth=1
	s_or_b64 exec, exec, s[22:23]
	buffer_load_dword v18, off, s[0:3], s33 offset:200 ; 4-byte Folded Reload
	buffer_load_dword v19, off, s[0:3], s33 offset:204 ; 4-byte Folded Reload
	;; [unrolled: 1-line block ×4, first 2 shown]
	v_and_b32_e32 v13, 0xffff0000, v37
	s_waitcnt vmcnt(2)
	v_and_b32_e32 v18, 0xffff0000, v19
	v_add_f32_e32 v18, v18, v13
	v_and_b32_e32 v13, 0x7f800000, v18
	v_cmp_ne_u32_e32 vcc, s48, v13
                                        ; implicit-def: $vgpr13
	s_and_saveexec_b64 s[22:23], vcc
	s_xor_b64 s[22:23], exec, s[22:23]
; %bb.440:                              ;   in Loop: Header=BB12_49 Depth=1
	v_bfe_u32 v13, v18, 16, 1
	v_add3_u32 v13, v18, v13, s49
                                        ; implicit-def: $vgpr18
; %bb.441:                              ;   in Loop: Header=BB12_49 Depth=1
	s_andn2_saveexec_b64 s[22:23], s[22:23]
; %bb.442:                              ;   in Loop: Header=BB12_49 Depth=1
	v_or_b32_e32 v13, 0x10000, v18
	v_cmp_eq_u32_sdwa vcc, v18, v30 src0_sel:WORD_0 src1_sel:DWORD
	v_cndmask_b32_e32 v13, v13, v18, vcc
; %bb.443:                              ;   in Loop: Header=BB12_49 Depth=1
	s_or_b64 exec, exec, s[22:23]
	buffer_load_dword v19, off, s[0:3], s33 offset:200 ; 4-byte Folded Reload
	buffer_load_dword v20, off, s[0:3], s33 offset:204 ; 4-byte Folded Reload
	;; [unrolled: 1-line block ×4, first 2 shown]
	v_lshlrev_b32_e32 v18, 16, v38
	s_waitcnt vmcnt(1)
	v_lshlrev_b32_e32 v19, 16, v21
	v_add_f32_e32 v19, v19, v18
	v_and_b32_e32 v18, 0x7f800000, v19
	v_cmp_ne_u32_e32 vcc, s48, v18
                                        ; implicit-def: $vgpr18
	s_and_saveexec_b64 s[22:23], vcc
	s_xor_b64 s[22:23], exec, s[22:23]
; %bb.444:                              ;   in Loop: Header=BB12_49 Depth=1
	v_bfe_u32 v18, v19, 16, 1
	v_add3_u32 v18, v19, v18, s49
                                        ; implicit-def: $vgpr19
; %bb.445:                              ;   in Loop: Header=BB12_49 Depth=1
	s_andn2_saveexec_b64 s[22:23], s[22:23]
; %bb.446:                              ;   in Loop: Header=BB12_49 Depth=1
	v_or_b32_e32 v18, 0x10000, v19
	v_cmp_eq_u32_sdwa vcc, v19, v30 src0_sel:WORD_0 src1_sel:DWORD
	v_cndmask_b32_e32 v18, v18, v19, vcc
; %bb.447:                              ;   in Loop: Header=BB12_49 Depth=1
	s_or_b64 exec, exec, s[22:23]
	buffer_load_dword v20, off, s[0:3], s33 offset:200 ; 4-byte Folded Reload
	buffer_load_dword v21, off, s[0:3], s33 offset:204 ; 4-byte Folded Reload
	;; [unrolled: 1-line block ×4, first 2 shown]
	v_and_b32_e32 v19, 0xffff0000, v38
	s_waitcnt vmcnt(1)
	v_and_b32_e32 v20, 0xffff0000, v22
	v_add_f32_e32 v20, v20, v19
	v_and_b32_e32 v19, 0x7f800000, v20
	v_cmp_ne_u32_e32 vcc, s48, v19
                                        ; implicit-def: $vgpr19
	s_and_saveexec_b64 s[22:23], vcc
	s_xor_b64 s[22:23], exec, s[22:23]
; %bb.448:                              ;   in Loop: Header=BB12_49 Depth=1
	v_bfe_u32 v19, v20, 16, 1
	v_add3_u32 v19, v20, v19, s49
                                        ; implicit-def: $vgpr20
; %bb.449:                              ;   in Loop: Header=BB12_49 Depth=1
	s_andn2_saveexec_b64 s[22:23], s[22:23]
; %bb.450:                              ;   in Loop: Header=BB12_49 Depth=1
	v_or_b32_e32 v19, 0x10000, v20
	v_cmp_eq_u32_sdwa vcc, v20, v30 src0_sel:WORD_0 src1_sel:DWORD
	v_cndmask_b32_e32 v19, v19, v20, vcc
; %bb.451:                              ;   in Loop: Header=BB12_49 Depth=1
	s_or_b64 exec, exec, s[22:23]
	buffer_load_dword v21, off, s[0:3], s33 offset:200 ; 4-byte Folded Reload
	buffer_load_dword v22, off, s[0:3], s33 offset:204 ; 4-byte Folded Reload
	;; [unrolled: 1-line block ×4, first 2 shown]
	v_lshlrev_b32_e32 v20, 16, v39
	s_waitcnt vmcnt(0)
	v_lshlrev_b32_e32 v21, 16, v24
	v_add_f32_e32 v21, v21, v20
	v_and_b32_e32 v20, 0x7f800000, v21
	v_cmp_ne_u32_e32 vcc, s48, v20
                                        ; implicit-def: $vgpr20
	s_and_saveexec_b64 s[22:23], vcc
	s_xor_b64 s[22:23], exec, s[22:23]
; %bb.452:                              ;   in Loop: Header=BB12_49 Depth=1
	v_bfe_u32 v20, v21, 16, 1
	v_add3_u32 v20, v21, v20, s49
                                        ; implicit-def: $vgpr21
; %bb.453:                              ;   in Loop: Header=BB12_49 Depth=1
	s_andn2_saveexec_b64 s[22:23], s[22:23]
; %bb.454:                              ;   in Loop: Header=BB12_49 Depth=1
	v_or_b32_e32 v20, 0x10000, v21
	v_cmp_eq_u32_sdwa vcc, v21, v30 src0_sel:WORD_0 src1_sel:DWORD
	v_cndmask_b32_e32 v20, v20, v21, vcc
; %bb.455:                              ;   in Loop: Header=BB12_49 Depth=1
	s_or_b64 exec, exec, s[22:23]
	buffer_load_dword v22, off, s[0:3], s33 offset:200 ; 4-byte Folded Reload
	buffer_load_dword v23, off, s[0:3], s33 offset:204 ; 4-byte Folded Reload
	;; [unrolled: 1-line block ×4, first 2 shown]
	v_and_b32_e32 v21, 0xffff0000, v39
	s_waitcnt vmcnt(0)
	v_and_b32_e32 v22, 0xffff0000, v25
	v_add_f32_e32 v22, v22, v21
	v_and_b32_e32 v21, 0x7f800000, v22
	v_cmp_ne_u32_e32 vcc, s48, v21
                                        ; implicit-def: $vgpr21
	s_and_saveexec_b64 s[22:23], vcc
	s_xor_b64 s[22:23], exec, s[22:23]
; %bb.456:                              ;   in Loop: Header=BB12_49 Depth=1
	v_bfe_u32 v21, v22, 16, 1
	v_add3_u32 v21, v22, v21, s49
                                        ; implicit-def: $vgpr22
; %bb.457:                              ;   in Loop: Header=BB12_49 Depth=1
	s_andn2_saveexec_b64 s[22:23], s[22:23]
; %bb.458:                              ;   in Loop: Header=BB12_49 Depth=1
	v_or_b32_e32 v21, 0x10000, v22
	v_cmp_eq_u32_sdwa vcc, v22, v30 src0_sel:WORD_0 src1_sel:DWORD
	v_cndmask_b32_e32 v21, v21, v22, vcc
; %bb.459:                              ;   in Loop: Header=BB12_49 Depth=1
	s_or_b64 exec, exec, s[22:23]
	buffer_load_dword v31, off, s[0:3], s33 offset:184 ; 4-byte Folded Reload
	buffer_load_dword v32, off, s[0:3], s33 offset:188 ; 4-byte Folded Reload
	;; [unrolled: 1-line block ×4, first 2 shown]
	v_lshlrev_b32_e32 v22, 16, v26
	s_waitcnt vmcnt(3)
	v_lshlrev_b32_e32 v23, 16, v31
	v_add_f32_e32 v23, v23, v22
	v_and_b32_e32 v22, 0x7f800000, v23
	v_cmp_ne_u32_e32 vcc, s48, v22
                                        ; implicit-def: $vgpr22
	s_and_saveexec_b64 s[22:23], vcc
	s_xor_b64 s[22:23], exec, s[22:23]
; %bb.460:                              ;   in Loop: Header=BB12_49 Depth=1
	v_bfe_u32 v22, v23, 16, 1
	v_add3_u32 v22, v23, v22, s49
                                        ; implicit-def: $vgpr23
; %bb.461:                              ;   in Loop: Header=BB12_49 Depth=1
	s_andn2_saveexec_b64 s[22:23], s[22:23]
; %bb.462:                              ;   in Loop: Header=BB12_49 Depth=1
	v_or_b32_e32 v22, 0x10000, v23
	v_cmp_eq_u32_sdwa vcc, v23, v30 src0_sel:WORD_0 src1_sel:DWORD
	v_cndmask_b32_e32 v22, v22, v23, vcc
; %bb.463:                              ;   in Loop: Header=BB12_49 Depth=1
	s_or_b64 exec, exec, s[22:23]
	buffer_load_dword v31, off, s[0:3], s33 offset:184 ; 4-byte Folded Reload
	buffer_load_dword v32, off, s[0:3], s33 offset:188 ; 4-byte Folded Reload
	;; [unrolled: 1-line block ×4, first 2 shown]
	v_and_b32_e32 v23, 0xffff0000, v26
	s_waitcnt vmcnt(3)
	v_and_b32_e32 v24, 0xffff0000, v31
	v_add_f32_e32 v24, v24, v23
	v_and_b32_e32 v23, 0x7f800000, v24
	v_cmp_ne_u32_e32 vcc, s48, v23
                                        ; implicit-def: $vgpr23
	s_and_saveexec_b64 s[22:23], vcc
	s_xor_b64 s[22:23], exec, s[22:23]
; %bb.464:                              ;   in Loop: Header=BB12_49 Depth=1
	v_bfe_u32 v23, v24, 16, 1
	v_add3_u32 v23, v24, v23, s49
                                        ; implicit-def: $vgpr24
; %bb.465:                              ;   in Loop: Header=BB12_49 Depth=1
	s_andn2_saveexec_b64 s[22:23], s[22:23]
; %bb.466:                              ;   in Loop: Header=BB12_49 Depth=1
	v_or_b32_e32 v23, 0x10000, v24
	v_cmp_eq_u32_sdwa vcc, v24, v30 src0_sel:WORD_0 src1_sel:DWORD
	v_cndmask_b32_e32 v23, v23, v24, vcc
; %bb.467:                              ;   in Loop: Header=BB12_49 Depth=1
	s_or_b64 exec, exec, s[22:23]
	buffer_load_dword v31, off, s[0:3], s33 offset:184 ; 4-byte Folded Reload
	buffer_load_dword v32, off, s[0:3], s33 offset:188 ; 4-byte Folded Reload
	;; [unrolled: 1-line block ×4, first 2 shown]
	v_lshlrev_b32_e32 v24, 16, v27
	s_waitcnt vmcnt(2)
	v_lshlrev_b32_e32 v25, 16, v32
	v_add_f32_e32 v25, v25, v24
	v_and_b32_e32 v24, 0x7f800000, v25
	v_cmp_ne_u32_e32 vcc, s48, v24
                                        ; implicit-def: $vgpr24
	s_and_saveexec_b64 s[22:23], vcc
	s_xor_b64 s[22:23], exec, s[22:23]
; %bb.468:                              ;   in Loop: Header=BB12_49 Depth=1
	v_bfe_u32 v24, v25, 16, 1
	v_add3_u32 v24, v25, v24, s49
                                        ; implicit-def: $vgpr25
; %bb.469:                              ;   in Loop: Header=BB12_49 Depth=1
	s_andn2_saveexec_b64 s[22:23], s[22:23]
; %bb.470:                              ;   in Loop: Header=BB12_49 Depth=1
	v_or_b32_e32 v24, 0x10000, v25
	v_cmp_eq_u32_sdwa vcc, v25, v30 src0_sel:WORD_0 src1_sel:DWORD
	v_cndmask_b32_e32 v24, v24, v25, vcc
; %bb.471:                              ;   in Loop: Header=BB12_49 Depth=1
	s_or_b64 exec, exec, s[22:23]
	buffer_load_dword v31, off, s[0:3], s33 offset:184 ; 4-byte Folded Reload
	buffer_load_dword v32, off, s[0:3], s33 offset:188 ; 4-byte Folded Reload
	;; [unrolled: 1-line block ×4, first 2 shown]
	v_and_b32_e32 v25, 0xffff0000, v27
	s_waitcnt vmcnt(2)
	v_and_b32_e32 v26, 0xffff0000, v32
	v_add_f32_e32 v26, v26, v25
	v_and_b32_e32 v25, 0x7f800000, v26
	v_cmp_ne_u32_e32 vcc, s48, v25
                                        ; implicit-def: $vgpr25
	s_and_saveexec_b64 s[22:23], vcc
	s_xor_b64 s[22:23], exec, s[22:23]
; %bb.472:                              ;   in Loop: Header=BB12_49 Depth=1
	v_bfe_u32 v25, v26, 16, 1
	v_add3_u32 v25, v26, v25, s49
                                        ; implicit-def: $vgpr26
; %bb.473:                              ;   in Loop: Header=BB12_49 Depth=1
	s_andn2_saveexec_b64 s[22:23], s[22:23]
; %bb.474:                              ;   in Loop: Header=BB12_49 Depth=1
	v_or_b32_e32 v25, 0x10000, v26
	v_cmp_eq_u32_sdwa vcc, v26, v30 src0_sel:WORD_0 src1_sel:DWORD
	v_cndmask_b32_e32 v25, v25, v26, vcc
; %bb.475:                              ;   in Loop: Header=BB12_49 Depth=1
	s_or_b64 exec, exec, s[22:23]
	buffer_load_dword v31, off, s[0:3], s33 offset:184 ; 4-byte Folded Reload
	buffer_load_dword v32, off, s[0:3], s33 offset:188 ; 4-byte Folded Reload
	;; [unrolled: 1-line block ×4, first 2 shown]
	v_lshlrev_b32_e32 v26, 16, v28
	s_waitcnt vmcnt(1)
	v_lshlrev_b32_e32 v27, 16, v33
	v_add_f32_e32 v27, v27, v26
	v_and_b32_e32 v26, 0x7f800000, v27
	v_cmp_ne_u32_e32 vcc, s48, v26
                                        ; implicit-def: $vgpr26
	s_and_saveexec_b64 s[22:23], vcc
	s_xor_b64 s[22:23], exec, s[22:23]
; %bb.476:                              ;   in Loop: Header=BB12_49 Depth=1
	v_bfe_u32 v26, v27, 16, 1
	v_add3_u32 v26, v27, v26, s49
                                        ; implicit-def: $vgpr27
; %bb.477:                              ;   in Loop: Header=BB12_49 Depth=1
	s_andn2_saveexec_b64 s[22:23], s[22:23]
; %bb.478:                              ;   in Loop: Header=BB12_49 Depth=1
	v_or_b32_e32 v26, 0x10000, v27
	v_cmp_eq_u32_sdwa vcc, v27, v30 src0_sel:WORD_0 src1_sel:DWORD
	v_cndmask_b32_e32 v26, v26, v27, vcc
; %bb.479:                              ;   in Loop: Header=BB12_49 Depth=1
	s_or_b64 exec, exec, s[22:23]
	buffer_load_dword v31, off, s[0:3], s33 offset:184 ; 4-byte Folded Reload
	buffer_load_dword v32, off, s[0:3], s33 offset:188 ; 4-byte Folded Reload
	;; [unrolled: 1-line block ×4, first 2 shown]
	v_and_b32_e32 v27, 0xffff0000, v28
	s_waitcnt vmcnt(1)
	v_and_b32_e32 v28, 0xffff0000, v33
	v_add_f32_e32 v28, v28, v27
	v_and_b32_e32 v27, 0x7f800000, v28
	v_cmp_ne_u32_e32 vcc, s48, v27
                                        ; implicit-def: $vgpr27
	s_and_saveexec_b64 s[22:23], vcc
	s_xor_b64 s[22:23], exec, s[22:23]
; %bb.480:                              ;   in Loop: Header=BB12_49 Depth=1
	v_bfe_u32 v27, v28, 16, 1
	v_add3_u32 v27, v28, v27, s49
                                        ; implicit-def: $vgpr28
; %bb.481:                              ;   in Loop: Header=BB12_49 Depth=1
	s_andn2_saveexec_b64 s[22:23], s[22:23]
; %bb.482:                              ;   in Loop: Header=BB12_49 Depth=1
	v_or_b32_e32 v27, 0x10000, v28
	v_cmp_eq_u32_sdwa vcc, v28, v30 src0_sel:WORD_0 src1_sel:DWORD
	v_cndmask_b32_e32 v27, v27, v28, vcc
; %bb.483:                              ;   in Loop: Header=BB12_49 Depth=1
	s_or_b64 exec, exec, s[22:23]
	buffer_load_dword v31, off, s[0:3], s33 offset:184 ; 4-byte Folded Reload
	buffer_load_dword v32, off, s[0:3], s33 offset:188 ; 4-byte Folded Reload
	;; [unrolled: 1-line block ×4, first 2 shown]
	v_lshlrev_b32_e32 v28, 16, v29
	s_waitcnt vmcnt(0)
	v_lshlrev_b32_e32 v31, 16, v34
	v_add_f32_e32 v31, v31, v28
	v_and_b32_e32 v28, 0x7f800000, v31
	v_cmp_ne_u32_e32 vcc, s48, v28
                                        ; implicit-def: $vgpr28
	s_and_saveexec_b64 s[22:23], vcc
	s_xor_b64 s[22:23], exec, s[22:23]
; %bb.484:                              ;   in Loop: Header=BB12_49 Depth=1
	v_bfe_u32 v28, v31, 16, 1
	v_add3_u32 v28, v31, v28, s49
                                        ; implicit-def: $vgpr31
; %bb.485:                              ;   in Loop: Header=BB12_49 Depth=1
	s_andn2_saveexec_b64 s[22:23], s[22:23]
; %bb.486:                              ;   in Loop: Header=BB12_49 Depth=1
	v_or_b32_e32 v28, 0x10000, v31
	v_cmp_eq_u32_sdwa vcc, v31, v30 src0_sel:WORD_0 src1_sel:DWORD
	v_cndmask_b32_e32 v28, v28, v31, vcc
; %bb.487:                              ;   in Loop: Header=BB12_49 Depth=1
	s_or_b64 exec, exec, s[22:23]
	buffer_load_dword v31, off, s[0:3], s33 offset:184 ; 4-byte Folded Reload
	buffer_load_dword v32, off, s[0:3], s33 offset:188 ; 4-byte Folded Reload
	buffer_load_dword v33, off, s[0:3], s33 offset:192 ; 4-byte Folded Reload
	buffer_load_dword v34, off, s[0:3], s33 offset:196 ; 4-byte Folded Reload
	v_and_b32_e32 v29, 0xffff0000, v29
	s_waitcnt vmcnt(0)
	v_and_b32_e32 v31, 0xffff0000, v34
	v_add_f32_e32 v31, v31, v29
	v_and_b32_e32 v29, 0x7f800000, v31
	v_cmp_ne_u32_e32 vcc, s48, v29
                                        ; implicit-def: $vgpr29
	s_and_saveexec_b64 s[22:23], vcc
	s_xor_b64 s[22:23], exec, s[22:23]
; %bb.488:                              ;   in Loop: Header=BB12_49 Depth=1
	v_bfe_u32 v29, v31, 16, 1
	v_add3_u32 v29, v31, v29, s49
                                        ; implicit-def: $vgpr31
; %bb.489:                              ;   in Loop: Header=BB12_49 Depth=1
	s_andn2_saveexec_b64 s[22:23], s[22:23]
; %bb.490:                              ;   in Loop: Header=BB12_49 Depth=1
	v_or_b32_e32 v29, 0x10000, v31
	v_cmp_eq_u32_sdwa vcc, v31, v30 src0_sel:WORD_0 src1_sel:DWORD
	v_cndmask_b32_e32 v29, v29, v31, vcc
; %bb.491:                              ;   in Loop: Header=BB12_49 Depth=1
	s_or_b64 exec, exec, s[22:23]
	buffer_load_dword v32, off, s[0:3], s33 offset:168 ; 4-byte Folded Reload
	buffer_load_dword v33, off, s[0:3], s33 offset:172 ; 4-byte Folded Reload
	;; [unrolled: 1-line block ×4, first 2 shown]
	v_lshlrev_b32_e32 v31, 16, v14
	s_waitcnt vmcnt(3)
	v_lshlrev_b32_e32 v32, 16, v32
	v_add_f32_e32 v31, v32, v31
	v_and_b32_e32 v32, 0x7f800000, v31
	v_cmp_ne_u32_e32 vcc, s48, v32
                                        ; implicit-def: $vgpr32
	s_and_saveexec_b64 s[22:23], vcc
	s_xor_b64 s[22:23], exec, s[22:23]
; %bb.492:                              ;   in Loop: Header=BB12_49 Depth=1
	v_bfe_u32 v32, v31, 16, 1
	v_add3_u32 v32, v31, v32, s49
                                        ; implicit-def: $vgpr31
; %bb.493:                              ;   in Loop: Header=BB12_49 Depth=1
	s_andn2_saveexec_b64 s[22:23], s[22:23]
; %bb.494:                              ;   in Loop: Header=BB12_49 Depth=1
	v_or_b32_e32 v32, 0x10000, v31
	v_cmp_eq_u32_sdwa vcc, v31, v30 src0_sel:WORD_0 src1_sel:DWORD
	v_cndmask_b32_e32 v32, v32, v31, vcc
; %bb.495:                              ;   in Loop: Header=BB12_49 Depth=1
	s_or_b64 exec, exec, s[22:23]
	buffer_load_dword v33, off, s[0:3], s33 offset:168 ; 4-byte Folded Reload
	buffer_load_dword v34, off, s[0:3], s33 offset:172 ; 4-byte Folded Reload
	;; [unrolled: 1-line block ×4, first 2 shown]
	v_and_b32_e32 v14, 0xffff0000, v14
	s_waitcnt vmcnt(3)
	v_and_b32_e32 v31, 0xffff0000, v33
	v_add_f32_e32 v31, v31, v14
	v_and_b32_e32 v14, 0x7f800000, v31
	v_cmp_ne_u32_e32 vcc, s48, v14
                                        ; implicit-def: $vgpr14
	s_and_saveexec_b64 s[22:23], vcc
	s_xor_b64 s[22:23], exec, s[22:23]
; %bb.496:                              ;   in Loop: Header=BB12_49 Depth=1
	v_bfe_u32 v14, v31, 16, 1
	v_add3_u32 v14, v31, v14, s49
                                        ; implicit-def: $vgpr31
; %bb.497:                              ;   in Loop: Header=BB12_49 Depth=1
	s_andn2_saveexec_b64 s[22:23], s[22:23]
; %bb.498:                              ;   in Loop: Header=BB12_49 Depth=1
	v_or_b32_e32 v14, 0x10000, v31
	v_cmp_eq_u32_sdwa vcc, v31, v30 src0_sel:WORD_0 src1_sel:DWORD
	v_cndmask_b32_e32 v14, v14, v31, vcc
; %bb.499:                              ;   in Loop: Header=BB12_49 Depth=1
	s_or_b64 exec, exec, s[22:23]
	buffer_load_dword v33, off, s[0:3], s33 offset:168 ; 4-byte Folded Reload
	buffer_load_dword v34, off, s[0:3], s33 offset:172 ; 4-byte Folded Reload
	buffer_load_dword v35, off, s[0:3], s33 offset:176 ; 4-byte Folded Reload
	buffer_load_dword v36, off, s[0:3], s33 offset:180 ; 4-byte Folded Reload
	v_lshlrev_b32_e32 v31, 16, v15
	s_waitcnt vmcnt(2)
	v_lshlrev_b32_e32 v33, 16, v34
	v_add_f32_e32 v33, v33, v31
	v_and_b32_e32 v31, 0x7f800000, v33
	v_cmp_ne_u32_e32 vcc, s48, v31
                                        ; implicit-def: $vgpr31
	s_and_saveexec_b64 s[22:23], vcc
	s_xor_b64 s[22:23], exec, s[22:23]
; %bb.500:                              ;   in Loop: Header=BB12_49 Depth=1
	v_bfe_u32 v31, v33, 16, 1
	v_add3_u32 v31, v33, v31, s49
                                        ; implicit-def: $vgpr33
; %bb.501:                              ;   in Loop: Header=BB12_49 Depth=1
	s_andn2_saveexec_b64 s[22:23], s[22:23]
; %bb.502:                              ;   in Loop: Header=BB12_49 Depth=1
	v_or_b32_e32 v31, 0x10000, v33
	v_cmp_eq_u32_sdwa vcc, v33, v30 src0_sel:WORD_0 src1_sel:DWORD
	v_cndmask_b32_e32 v31, v31, v33, vcc
; %bb.503:                              ;   in Loop: Header=BB12_49 Depth=1
	s_or_b64 exec, exec, s[22:23]
	buffer_load_dword v33, off, s[0:3], s33 offset:168 ; 4-byte Folded Reload
	buffer_load_dword v34, off, s[0:3], s33 offset:172 ; 4-byte Folded Reload
	;; [unrolled: 1-line block ×4, first 2 shown]
	v_and_b32_e32 v15, 0xffff0000, v15
	s_waitcnt vmcnt(2)
	v_and_b32_e32 v33, 0xffff0000, v34
	v_add_f32_e32 v33, v33, v15
	v_and_b32_e32 v15, 0x7f800000, v33
	v_cmp_ne_u32_e32 vcc, s48, v15
                                        ; implicit-def: $vgpr15
	s_and_saveexec_b64 s[22:23], vcc
	s_xor_b64 s[22:23], exec, s[22:23]
; %bb.504:                              ;   in Loop: Header=BB12_49 Depth=1
	v_bfe_u32 v15, v33, 16, 1
	v_add3_u32 v15, v33, v15, s49
                                        ; implicit-def: $vgpr33
; %bb.505:                              ;   in Loop: Header=BB12_49 Depth=1
	s_andn2_saveexec_b64 s[22:23], s[22:23]
; %bb.506:                              ;   in Loop: Header=BB12_49 Depth=1
	v_or_b32_e32 v15, 0x10000, v33
	v_cmp_eq_u32_sdwa vcc, v33, v30 src0_sel:WORD_0 src1_sel:DWORD
	v_cndmask_b32_e32 v15, v15, v33, vcc
; %bb.507:                              ;   in Loop: Header=BB12_49 Depth=1
	s_or_b64 exec, exec, s[22:23]
	buffer_load_dword v34, off, s[0:3], s33 offset:168 ; 4-byte Folded Reload
	buffer_load_dword v35, off, s[0:3], s33 offset:172 ; 4-byte Folded Reload
	buffer_load_dword v36, off, s[0:3], s33 offset:176 ; 4-byte Folded Reload
	buffer_load_dword v37, off, s[0:3], s33 offset:180 ; 4-byte Folded Reload
	v_lshlrev_b32_e32 v33, 16, v16
	s_waitcnt vmcnt(1)
	v_lshlrev_b32_e32 v34, 16, v36
	v_add_f32_e32 v34, v34, v33
	v_and_b32_e32 v33, 0x7f800000, v34
	v_cmp_ne_u32_e32 vcc, s48, v33
                                        ; implicit-def: $vgpr33
	s_and_saveexec_b64 s[22:23], vcc
	s_xor_b64 s[22:23], exec, s[22:23]
; %bb.508:                              ;   in Loop: Header=BB12_49 Depth=1
	v_bfe_u32 v33, v34, 16, 1
	v_add3_u32 v33, v34, v33, s49
                                        ; implicit-def: $vgpr34
; %bb.509:                              ;   in Loop: Header=BB12_49 Depth=1
	s_andn2_saveexec_b64 s[22:23], s[22:23]
; %bb.510:                              ;   in Loop: Header=BB12_49 Depth=1
	v_or_b32_e32 v33, 0x10000, v34
	v_cmp_eq_u32_sdwa vcc, v34, v30 src0_sel:WORD_0 src1_sel:DWORD
	v_cndmask_b32_e32 v33, v33, v34, vcc
; %bb.511:                              ;   in Loop: Header=BB12_49 Depth=1
	s_or_b64 exec, exec, s[22:23]
	buffer_load_dword v34, off, s[0:3], s33 offset:168 ; 4-byte Folded Reload
	buffer_load_dword v35, off, s[0:3], s33 offset:172 ; 4-byte Folded Reload
	;; [unrolled: 1-line block ×4, first 2 shown]
	v_and_b32_e32 v16, 0xffff0000, v16
	s_waitcnt vmcnt(1)
	v_and_b32_e32 v34, 0xffff0000, v36
	v_add_f32_e32 v34, v34, v16
	v_and_b32_e32 v16, 0x7f800000, v34
	v_cmp_ne_u32_e32 vcc, s48, v16
                                        ; implicit-def: $vgpr16
	s_and_saveexec_b64 s[22:23], vcc
	s_xor_b64 s[22:23], exec, s[22:23]
; %bb.512:                              ;   in Loop: Header=BB12_49 Depth=1
	v_bfe_u32 v16, v34, 16, 1
	v_add3_u32 v16, v34, v16, s49
                                        ; implicit-def: $vgpr34
; %bb.513:                              ;   in Loop: Header=BB12_49 Depth=1
	s_andn2_saveexec_b64 s[22:23], s[22:23]
; %bb.514:                              ;   in Loop: Header=BB12_49 Depth=1
	v_or_b32_e32 v16, 0x10000, v34
	v_cmp_eq_u32_sdwa vcc, v34, v30 src0_sel:WORD_0 src1_sel:DWORD
	v_cndmask_b32_e32 v16, v16, v34, vcc
; %bb.515:                              ;   in Loop: Header=BB12_49 Depth=1
	s_or_b64 exec, exec, s[22:23]
	buffer_load_dword v35, off, s[0:3], s33 offset:168 ; 4-byte Folded Reload
	buffer_load_dword v36, off, s[0:3], s33 offset:172 ; 4-byte Folded Reload
	;; [unrolled: 1-line block ×4, first 2 shown]
	v_lshlrev_b32_e32 v34, 16, v17
	s_waitcnt vmcnt(0)
	v_lshlrev_b32_e32 v35, 16, v38
	v_add_f32_e32 v35, v35, v34
	v_and_b32_e32 v34, 0x7f800000, v35
	v_cmp_ne_u32_e32 vcc, s48, v34
                                        ; implicit-def: $vgpr34
	s_and_saveexec_b64 s[22:23], vcc
	s_xor_b64 s[22:23], exec, s[22:23]
; %bb.516:                              ;   in Loop: Header=BB12_49 Depth=1
	v_bfe_u32 v34, v35, 16, 1
	v_add3_u32 v34, v35, v34, s49
                                        ; implicit-def: $vgpr35
; %bb.517:                              ;   in Loop: Header=BB12_49 Depth=1
	s_andn2_saveexec_b64 s[22:23], s[22:23]
; %bb.518:                              ;   in Loop: Header=BB12_49 Depth=1
	v_or_b32_e32 v34, 0x10000, v35
	v_cmp_eq_u32_sdwa vcc, v35, v30 src0_sel:WORD_0 src1_sel:DWORD
	v_cndmask_b32_e32 v34, v34, v35, vcc
; %bb.519:                              ;   in Loop: Header=BB12_49 Depth=1
	s_or_b64 exec, exec, s[22:23]
	buffer_load_dword v35, off, s[0:3], s33 offset:168 ; 4-byte Folded Reload
	buffer_load_dword v36, off, s[0:3], s33 offset:172 ; 4-byte Folded Reload
	;; [unrolled: 1-line block ×4, first 2 shown]
	v_and_b32_e32 v17, 0xffff0000, v17
	s_waitcnt vmcnt(0)
	v_and_b32_e32 v35, 0xffff0000, v38
	v_add_f32_e32 v35, v35, v17
	v_and_b32_e32 v17, 0x7f800000, v35
	v_cmp_ne_u32_e32 vcc, s48, v17
                                        ; implicit-def: $vgpr17
	s_and_saveexec_b64 s[22:23], vcc
	s_xor_b64 s[22:23], exec, s[22:23]
; %bb.520:                              ;   in Loop: Header=BB12_49 Depth=1
	v_bfe_u32 v17, v35, 16, 1
	v_add3_u32 v17, v35, v17, s49
                                        ; implicit-def: $vgpr35
; %bb.521:                              ;   in Loop: Header=BB12_49 Depth=1
	s_andn2_saveexec_b64 s[22:23], s[22:23]
; %bb.522:                              ;   in Loop: Header=BB12_49 Depth=1
	v_or_b32_e32 v17, 0x10000, v35
	v_cmp_eq_u32_sdwa vcc, v35, v30 src0_sel:WORD_0 src1_sel:DWORD
	v_cndmask_b32_e32 v17, v17, v35, vcc
; %bb.523:                              ;   in Loop: Header=BB12_49 Depth=1
	s_or_b64 exec, exec, s[22:23]
	v_lshrrev_b32_e32 v2, 16, v2
	v_lshrrev_b32_e32 v4, 16, v4
	v_and_or_b32 v3, v3, s50, v2
	v_lshrrev_b32_e32 v2, 16, v6
	v_and_or_b32 v4, v5, s50, v4
	v_and_or_b32 v5, v7, s50, v2
	v_lshrrev_b32_e32 v2, 16, v8
	v_and_or_b32 v6, v9, s50, v2
	v_lshrrev_b32_e32 v2, 16, v31
	v_lshrrev_b32_e32 v22, 16, v22
	;; [unrolled: 1-line block ×3, first 2 shown]
	v_and_or_b32 v8, v15, s50, v2
	v_lshrrev_b32_e32 v2, 16, v32
	v_lshrrev_b32_e32 v24, 16, v24
	v_and_or_b32 v23, v23, s50, v22
	v_lshrrev_b32_e32 v22, 16, v26
	v_and_or_b32 v35, v11, s50, v10
	;; [unrolled: 2-line block ×4, first 2 shown]
	v_and_or_b32 v25, v27, s50, v22
	v_lshrrev_b32_e32 v22, 16, v28
	v_lshrrev_b32_e32 v12, 16, v12
	v_and_or_b32 v37, v19, s50, v10
	v_lshrrev_b32_e32 v10, 16, v20
	v_and_or_b32 v9, v16, s50, v2
	;; [unrolled: 2-line block ×3, first 2 shown]
	v_and_or_b32 v36, v13, s50, v12
	v_and_or_b32 v38, v21, s50, v10
	;; [unrolled: 1-line block ×3, first 2 shown]
	global_store_dwordx4 v[0:1], v[3:6], off glc slc
	global_store_dwordx4 v[0:1], v[35:38], off offset:1024 glc slc
	global_store_dwordx4 v[0:1], v[23:26], off offset:2048 glc slc
	;; [unrolled: 1-line block ×3, first 2 shown]
.LBB12_524:                             ;   in Loop: Header=BB12_49 Depth=1
	s_or_b64 exec, exec, s[20:21]
	buffer_load_dword v0, off, s[0:3], s33 offset:504 ; 4-byte Folded Reload
                                        ; implicit-def: $vgpr6
                                        ; implicit-def: $vgpr7
	s_waitcnt vmcnt(0)
	v_lshlrev_b32_e32 v2, 12, v0
	v_cmp_ne_u32_e32 vcc, v42, v2
                                        ; implicit-def: $vgpr0
	s_mov_b64 s[62:63], exec
	buffer_load_dword v27, off, s[0:3], s33 offset:484 ; 4-byte Folded Reload
	buffer_load_dword v28, off, s[0:3], s33 offset:492 ; 4-byte Folded Reload
	;; [unrolled: 1-line block ×3, first 2 shown]
	s_and_b64 s[20:21], s[62:63], vcc
	s_mov_b64 exec, s[20:21]
	s_cbranch_execz .LBB12_639
; %bb.525:                              ;   in Loop: Header=BB12_49 Depth=1
	buffer_load_dword v1, off, s[0:3], s33 offset:248 ; 4-byte Folded Reload
	buffer_load_dword v3, off, s[0:3], s33 offset:508 ; 4-byte Folded Reload
	v_sub_u32_e32 v0, v42, v2
	s_mov_b64 s[74:75], 0
	s_waitcnt vmcnt(1)
	v_lshlrev_b32_e32 v1, 6, v1
	s_waitcnt vmcnt(0)
	v_sub_u32_e32 v1, v3, v1
	v_ashrrev_i32_e32 v3, 31, v1
	v_lshrrev_b32_e32 v3, 26, v3
	v_add_u32_e32 v3, v1, v3
	v_ashrrev_i32_e32 v7, 6, v3
	v_and_b32_e32 v3, 0xffffffc0, v3
	v_sub_u32_e32 v3, v1, v3
	v_lshlrev_b32_e32 v1, 4, v3
	v_lshl_add_u32 v1, v7, 10, v1
	v_add_u32_e32 v10, v1, v2
	v_sub_u32_e32 v6, v0, v1
	v_ashrrev_i32_e32 v1, 31, v0
	v_lshrrev_b32_e32 v1, 22, v1
	v_add_u32_e32 v1, v0, v1
	v_and_b32_e32 v4, 0xfffffc00, v1
	v_sub_u32_e32 v5, v0, v4
	v_ashrrev_i32_e32 v8, 10, v1
	v_cmp_lt_i32_e64 s[20:21], 15, v5
	v_addc_co_u32_e64 v0, vcc, 0, v8, s[20:21]
	v_ashrrev_i32_e32 v11, 31, v10
	v_sub_u32_e32 v8, v0, v7
	v_add_co_u32_e32 v0, vcc, v10, v28
	v_addc_co_u32_e32 v1, vcc, v11, v29, vcc
	v_cmp_lt_i32_e32 vcc, 15, v6
	s_and_saveexec_b64 s[72:73], vcc
	s_cbranch_execz .LBB12_602
; %bb.526:                              ;   in Loop: Header=BB12_49 Depth=1
	s_trap 2
	ds_read_b64 v[12:13], v0
	buffer_load_dword v14, off, s[0:3], s33 offset:448 ; 4-byte Folded Reload
	buffer_load_dword v15, off, s[0:3], s33 offset:452 ; 4-byte Folded Reload
	s_mov_b64 s[78:79], 0
                                        ; implicit-def: $sgpr76_sgpr77
	s_waitcnt vmcnt(1)
	v_add_co_u32_e32 v7, vcc, v10, v14
	s_waitcnt vmcnt(0)
	v_addc_co_u32_e32 v9, vcc, v11, v15, vcc
	s_waitcnt lgkmcnt(0)
	v_add_co_u32_e32 v10, vcc, v12, v10
	v_addc_co_u32_e32 v11, vcc, v13, v11, vcc
	s_branch .LBB12_528
.LBB12_527:                             ;   in Loop: Header=BB12_528 Depth=2
	s_or_b64 exec, exec, s[22:23]
	v_cmp_gt_i32_e32 vcc, 16, v6
	s_or_b64 s[74:75], vcc, s[74:75]
	s_andn2_b64 s[22:23], s[76:77], exec
	s_and_b64 s[76:77], s[78:79], exec
	s_or_b64 s[76:77], s[22:23], s[76:77]
	s_andn2_b64 exec, exec, s[74:75]
	s_cbranch_execz .LBB12_601
.LBB12_528:                             ;   Parent Loop BB12_49 Depth=1
                                        ; =>  This Loop Header: Depth=2
                                        ;       Child Loop BB12_529 Depth 3
                                        ;       Child Loop BB12_566 Depth 3
	s_lshr_b32 s92, s33, 6
	s_add_i32 s92, s92, 64
	s_mov_b64 s[88:89], -1
	s_mov_b64 s[90:91], 0
.LBB12_529:                             ;   Parent Loop BB12_49 Depth=1
                                        ;     Parent Loop BB12_528 Depth=2
                                        ; =>    This Inner Loop Header: Depth=3
	s_cmp_eq_u32 s90, 1
	s_cselect_b64 s[22:23], -1, 0
	v_cndmask_b32_e64 v17, v9, v11, s[22:23]
	v_cndmask_b32_e64 v16, v7, v10, s[22:23]
	global_load_dwordx4 v[12:15], v[16:17], off glc slc
	v_mov_b32_e32 v18, s92
	s_cmp_eq_u32 s90, 0
	s_mov_b64 s[90:91], 1
	s_mov_b32 s92, s36
	s_waitcnt vmcnt(0)
	buffer_store_dword v13, v18, s[0:3], 0 offen offset:4
	buffer_store_dword v12, v18, s[0:3], 0 offen
	buffer_store_dword v15, v18, s[0:3], 0 offen offset:12
	buffer_store_dword v14, v18, s[0:3], 0 offen offset:8
	v_add_co_u32_e32 v12, vcc, s37, v16
	v_addc_co_u32_e32 v13, vcc, 0, v17, vcc
	s_cselect_b64 vcc, -1, 0
	v_cndmask_b32_e32 v9, v9, v13, vcc
	v_cndmask_b32_e32 v7, v7, v12, vcc
	v_cndmask_b32_e64 v11, v11, v13, s[22:23]
	v_cndmask_b32_e64 v10, v10, v12, s[22:23]
	s_and_b64 vcc, exec, s[88:89]
	s_mov_b64 s[88:89], 0
	s_cbranch_vccnz .LBB12_529
; %bb.530:                              ;   in Loop: Header=BB12_528 Depth=2
	s_and_saveexec_b64 s[22:23], s[78:79]
	s_cbranch_execz .LBB12_564
; %bb.531:                              ;   in Loop: Header=BB12_528 Depth=2
	buffer_load_dword v15, off, s[0:3], s33 offset:96
	buffer_load_dword v19, off, s[0:3], s33 offset:100
	;; [unrolled: 1-line block ×8, first 2 shown]
	s_waitcnt vmcnt(7)
	v_lshlrev_b32_e32 v12, 16, v15
	s_waitcnt vmcnt(4)
	v_lshlrev_b32_e32 v21, 16, v16
	v_add_f32_e32 v21, v12, v21
	v_and_b32_e32 v12, 0x7f800000, v21
	v_cmp_ne_u32_e32 vcc, s48, v12
                                        ; implicit-def: $vgpr12
	s_and_saveexec_b64 s[78:79], vcc
	s_xor_b64 s[78:79], exec, s[78:79]
; %bb.532:                              ;   in Loop: Header=BB12_528 Depth=2
	v_bfe_u32 v12, v21, 16, 1
	v_add3_u32 v12, v21, v12, s49
                                        ; implicit-def: $vgpr21
; %bb.533:                              ;   in Loop: Header=BB12_528 Depth=2
	s_andn2_saveexec_b64 s[78:79], s[78:79]
; %bb.534:                              ;   in Loop: Header=BB12_528 Depth=2
	v_or_b32_e32 v12, 0x10000, v21
	v_cmp_eq_u32_sdwa vcc, v21, v30 src0_sel:WORD_0 src1_sel:DWORD
	v_cndmask_b32_e32 v12, v12, v21, vcc
; %bb.535:                              ;   in Loop: Header=BB12_528 Depth=2
	s_or_b64 exec, exec, s[78:79]
	v_and_b32_e32 v15, 0xffff0000, v15
	v_and_b32_e32 v16, 0xffff0000, v16
	v_add_f32_e32 v16, v15, v16
	v_and_b32_e32 v15, 0x7f800000, v16
	v_cmp_ne_u32_e32 vcc, s48, v15
                                        ; implicit-def: $vgpr15
	s_and_saveexec_b64 s[78:79], vcc
	s_xor_b64 s[78:79], exec, s[78:79]
; %bb.536:                              ;   in Loop: Header=BB12_528 Depth=2
	v_bfe_u32 v15, v16, 16, 1
	v_add3_u32 v15, v16, v15, s49
                                        ; implicit-def: $vgpr16
; %bb.537:                              ;   in Loop: Header=BB12_528 Depth=2
	s_andn2_saveexec_b64 s[78:79], s[78:79]
; %bb.538:                              ;   in Loop: Header=BB12_528 Depth=2
	v_or_b32_e32 v15, 0x10000, v16
	v_cmp_eq_u32_sdwa vcc, v16, v30 src0_sel:WORD_0 src1_sel:DWORD
	v_cndmask_b32_e32 v15, v15, v16, vcc
; %bb.539:                              ;   in Loop: Header=BB12_528 Depth=2
	s_or_b64 exec, exec, s[78:79]
	v_lshlrev_b32_e32 v16, 16, v19
	s_waitcnt vmcnt(3)
	v_lshlrev_b32_e32 v21, 16, v20
	v_add_f32_e32 v21, v16, v21
	v_and_b32_e32 v16, 0x7f800000, v21
	v_cmp_ne_u32_e32 vcc, s48, v16
                                        ; implicit-def: $vgpr16
	s_and_saveexec_b64 s[78:79], vcc
	s_xor_b64 s[78:79], exec, s[78:79]
; %bb.540:                              ;   in Loop: Header=BB12_528 Depth=2
	v_bfe_u32 v16, v21, 16, 1
	v_add3_u32 v16, v21, v16, s49
                                        ; implicit-def: $vgpr21
; %bb.541:                              ;   in Loop: Header=BB12_528 Depth=2
	s_andn2_saveexec_b64 s[78:79], s[78:79]
; %bb.542:                              ;   in Loop: Header=BB12_528 Depth=2
	v_or_b32_e32 v16, 0x10000, v21
	v_cmp_eq_u32_sdwa vcc, v21, v30 src0_sel:WORD_0 src1_sel:DWORD
	v_cndmask_b32_e32 v16, v16, v21, vcc
; %bb.543:                              ;   in Loop: Header=BB12_528 Depth=2
	s_or_b64 exec, exec, s[78:79]
	v_and_b32_e32 v19, 0xffff0000, v19
	v_and_b32_e32 v20, 0xffff0000, v20
	v_add_f32_e32 v20, v19, v20
	v_and_b32_e32 v19, 0x7f800000, v20
	v_cmp_ne_u32_e32 vcc, s48, v19
                                        ; implicit-def: $vgpr19
	s_and_saveexec_b64 s[78:79], vcc
	s_xor_b64 s[78:79], exec, s[78:79]
; %bb.544:                              ;   in Loop: Header=BB12_528 Depth=2
	v_bfe_u32 v19, v20, 16, 1
	v_add3_u32 v19, v20, v19, s49
                                        ; implicit-def: $vgpr20
; %bb.545:                              ;   in Loop: Header=BB12_528 Depth=2
	s_andn2_saveexec_b64 s[78:79], s[78:79]
; %bb.546:                              ;   in Loop: Header=BB12_528 Depth=2
	v_or_b32_e32 v19, 0x10000, v20
	v_cmp_eq_u32_sdwa vcc, v20, v30 src0_sel:WORD_0 src1_sel:DWORD
	v_cndmask_b32_e32 v19, v19, v20, vcc
; %bb.547:                              ;   in Loop: Header=BB12_528 Depth=2
	s_or_b64 exec, exec, s[78:79]
	v_lshlrev_b32_e32 v20, 16, v17
	s_waitcnt vmcnt(2)
	v_lshlrev_b32_e32 v21, 16, v18
	v_add_f32_e32 v21, v20, v21
	v_and_b32_e32 v20, 0x7f800000, v21
	v_cmp_ne_u32_e32 vcc, s48, v20
                                        ; implicit-def: $vgpr20
	s_and_saveexec_b64 s[78:79], vcc
	s_xor_b64 s[78:79], exec, s[78:79]
; %bb.548:                              ;   in Loop: Header=BB12_528 Depth=2
	v_bfe_u32 v20, v21, 16, 1
	v_add3_u32 v20, v21, v20, s49
                                        ; implicit-def: $vgpr21
; %bb.549:                              ;   in Loop: Header=BB12_528 Depth=2
	s_andn2_saveexec_b64 s[78:79], s[78:79]
; %bb.550:                              ;   in Loop: Header=BB12_528 Depth=2
	v_or_b32_e32 v20, 0x10000, v21
	v_cmp_eq_u32_sdwa vcc, v21, v30 src0_sel:WORD_0 src1_sel:DWORD
	v_cndmask_b32_e32 v20, v20, v21, vcc
; %bb.551:                              ;   in Loop: Header=BB12_528 Depth=2
	s_or_b64 exec, exec, s[78:79]
	v_and_b32_e32 v17, 0xffff0000, v17
	v_and_b32_e32 v18, 0xffff0000, v18
	v_add_f32_e32 v18, v17, v18
	v_and_b32_e32 v17, 0x7f800000, v18
	v_cmp_ne_u32_e32 vcc, s48, v17
                                        ; implicit-def: $vgpr17
	s_and_saveexec_b64 s[78:79], vcc
	s_xor_b64 s[78:79], exec, s[78:79]
; %bb.552:                              ;   in Loop: Header=BB12_528 Depth=2
	v_bfe_u32 v17, v18, 16, 1
	v_add3_u32 v17, v18, v17, s49
                                        ; implicit-def: $vgpr18
; %bb.553:                              ;   in Loop: Header=BB12_528 Depth=2
	s_andn2_saveexec_b64 s[78:79], s[78:79]
; %bb.554:                              ;   in Loop: Header=BB12_528 Depth=2
	v_or_b32_e32 v17, 0x10000, v18
	v_cmp_eq_u32_sdwa vcc, v18, v30 src0_sel:WORD_0 src1_sel:DWORD
	v_cndmask_b32_e32 v17, v17, v18, vcc
; %bb.555:                              ;   in Loop: Header=BB12_528 Depth=2
	s_or_b64 exec, exec, s[78:79]
	s_waitcnt vmcnt(0)
	v_lshlrev_b32_e32 v18, 16, v14
	v_lshlrev_b32_e32 v21, 16, v13
	v_add_f32_e32 v21, v18, v21
	v_and_b32_e32 v18, 0x7f800000, v21
	v_cmp_ne_u32_e32 vcc, s48, v18
                                        ; implicit-def: $vgpr18
	s_and_saveexec_b64 s[78:79], vcc
	s_xor_b64 s[78:79], exec, s[78:79]
; %bb.556:                              ;   in Loop: Header=BB12_528 Depth=2
	v_bfe_u32 v18, v21, 16, 1
	v_add3_u32 v18, v21, v18, s49
                                        ; implicit-def: $vgpr21
; %bb.557:                              ;   in Loop: Header=BB12_528 Depth=2
	s_andn2_saveexec_b64 s[78:79], s[78:79]
; %bb.558:                              ;   in Loop: Header=BB12_528 Depth=2
	v_or_b32_e32 v18, 0x10000, v21
	v_cmp_eq_u32_sdwa vcc, v21, v30 src0_sel:WORD_0 src1_sel:DWORD
	v_cndmask_b32_e32 v18, v18, v21, vcc
; %bb.559:                              ;   in Loop: Header=BB12_528 Depth=2
	s_or_b64 exec, exec, s[78:79]
	v_and_b32_e32 v14, 0xffff0000, v14
	v_and_b32_e32 v13, 0xffff0000, v13
	v_add_f32_e32 v14, v14, v13
	v_and_b32_e32 v13, 0x7f800000, v14
	v_cmp_ne_u32_e32 vcc, s48, v13
                                        ; implicit-def: $vgpr13
	s_and_saveexec_b64 s[78:79], vcc
	s_xor_b64 s[78:79], exec, s[78:79]
; %bb.560:                              ;   in Loop: Header=BB12_528 Depth=2
	v_bfe_u32 v13, v14, 16, 1
	v_add3_u32 v13, v14, v13, s49
                                        ; implicit-def: $vgpr14
; %bb.561:                              ;   in Loop: Header=BB12_528 Depth=2
	s_andn2_saveexec_b64 s[78:79], s[78:79]
; %bb.562:                              ;   in Loop: Header=BB12_528 Depth=2
	v_or_b32_e32 v13, 0x10000, v14
	v_cmp_eq_u32_sdwa vcc, v14, v30 src0_sel:WORD_0 src1_sel:DWORD
	v_cndmask_b32_e32 v13, v13, v14, vcc
; %bb.563:                              ;   in Loop: Header=BB12_528 Depth=2
	s_or_b64 exec, exec, s[78:79]
	v_lshrrev_b32_e32 v12, 16, v12
	v_and_or_b32 v15, v15, s50, v12
	v_lshrrev_b32_e32 v12, 16, v20
	v_lshrrev_b32_e32 v14, 16, v16
	v_and_or_b32 v17, v17, s50, v12
	v_lshrrev_b32_e32 v12, 16, v18
	v_and_or_b32 v16, v19, s50, v14
	v_and_or_b32 v18, v13, s50, v12
	buffer_store_dword v16, off, s[0:3], s33 offset:100
	buffer_store_dword v15, off, s[0:3], s33 offset:96
	;; [unrolled: 1-line block ×4, first 2 shown]
	global_store_dwordx4 v[0:1], v[15:18], off glc slc
	v_add_co_u32_e32 v0, vcc, v47, v0
	v_addc_co_u32_e32 v1, vcc, v60, v1, vcc
.LBB12_564:                             ;   in Loop: Header=BB12_528 Depth=2
	s_or_b64 exec, exec, s[22:23]
	v_add_co_u32_e32 v7, vcc, v7, v45
	v_addc_co_u32_e32 v9, vcc, v9, v46, vcc
	v_add_co_u32_e32 v10, vcc, v10, v45
	v_sub_u32_e32 v6, v6, v43
	v_addc_co_u32_e32 v11, vcc, v11, v46, vcc
	v_cmp_lt_i32_e64 s[78:79], 15, v6
	s_and_saveexec_b64 s[88:89], s[78:79]
	s_cbranch_execz .LBB12_567
; %bb.565:                              ;   in Loop: Header=BB12_528 Depth=2
	s_lshr_b32 s94, s33, 6
	s_addk_i32 s94, 0x60
	s_mov_b64 s[92:93], 0
	s_mov_b64 s[90:91], -1
.LBB12_566:                             ;   Parent Loop BB12_49 Depth=1
                                        ;     Parent Loop BB12_528 Depth=2
                                        ; =>    This Inner Loop Header: Depth=3
	s_cmp_eq_u32 s92, 1
	s_cselect_b64 s[22:23], -1, 0
	v_cndmask_b32_e64 v17, v9, v11, s[22:23]
	v_cndmask_b32_e64 v16, v7, v10, s[22:23]
	global_load_dwordx4 v[12:15], v[16:17], off glc slc
	v_mov_b32_e32 v18, s94
	s_cmp_eq_u32 s92, 0
	s_mov_b64 s[92:93], 1
	s_mov_b32 s94, s35
	s_waitcnt vmcnt(0)
	buffer_store_dword v13, v18, s[0:3], 0 offen offset:4
	buffer_store_dword v12, v18, s[0:3], 0 offen
	buffer_store_dword v15, v18, s[0:3], 0 offen offset:12
	buffer_store_dword v14, v18, s[0:3], 0 offen offset:8
	v_add_co_u32_e32 v12, vcc, s37, v16
	v_addc_co_u32_e32 v13, vcc, 0, v17, vcc
	s_cselect_b64 vcc, -1, 0
	v_cndmask_b32_e32 v9, v9, v13, vcc
	v_cndmask_b32_e32 v7, v7, v12, vcc
	v_cndmask_b32_e64 v11, v11, v13, s[22:23]
	v_cndmask_b32_e64 v10, v10, v12, s[22:23]
	s_and_b64 vcc, exec, s[90:91]
	s_mov_b64 s[90:91], 0
	s_cbranch_vccnz .LBB12_566
.LBB12_567:                             ;   in Loop: Header=BB12_528 Depth=2
	s_or_b64 exec, exec, s[88:89]
	buffer_load_dword v15, off, s[0:3], s33 offset:64
	buffer_load_dword v19, off, s[0:3], s33 offset:68
	;; [unrolled: 1-line block ×8, first 2 shown]
	s_waitcnt vmcnt(7)
	v_lshlrev_b32_e32 v12, 16, v15
	s_waitcnt vmcnt(4)
	v_lshlrev_b32_e32 v21, 16, v16
	v_add_f32_e32 v21, v12, v21
	v_and_b32_e32 v12, 0x7f800000, v21
	v_cmp_ne_u32_e32 vcc, s48, v12
                                        ; implicit-def: $vgpr12
	s_and_saveexec_b64 s[22:23], vcc
	s_xor_b64 s[22:23], exec, s[22:23]
; %bb.568:                              ;   in Loop: Header=BB12_528 Depth=2
	v_bfe_u32 v12, v21, 16, 1
	v_add3_u32 v12, v21, v12, s49
                                        ; implicit-def: $vgpr21
; %bb.569:                              ;   in Loop: Header=BB12_528 Depth=2
	s_andn2_saveexec_b64 s[22:23], s[22:23]
; %bb.570:                              ;   in Loop: Header=BB12_528 Depth=2
	v_or_b32_e32 v12, 0x10000, v21
	v_cmp_eq_u32_sdwa vcc, v21, v30 src0_sel:WORD_0 src1_sel:DWORD
	v_cndmask_b32_e32 v12, v12, v21, vcc
; %bb.571:                              ;   in Loop: Header=BB12_528 Depth=2
	s_or_b64 exec, exec, s[22:23]
	v_and_b32_e32 v15, 0xffff0000, v15
	v_and_b32_e32 v16, 0xffff0000, v16
	v_add_f32_e32 v16, v15, v16
	v_and_b32_e32 v15, 0x7f800000, v16
	v_cmp_ne_u32_e32 vcc, s48, v15
                                        ; implicit-def: $vgpr15
	s_and_saveexec_b64 s[22:23], vcc
	s_xor_b64 s[22:23], exec, s[22:23]
; %bb.572:                              ;   in Loop: Header=BB12_528 Depth=2
	v_bfe_u32 v15, v16, 16, 1
	v_add3_u32 v15, v16, v15, s49
                                        ; implicit-def: $vgpr16
; %bb.573:                              ;   in Loop: Header=BB12_528 Depth=2
	s_andn2_saveexec_b64 s[22:23], s[22:23]
; %bb.574:                              ;   in Loop: Header=BB12_528 Depth=2
	v_or_b32_e32 v15, 0x10000, v16
	v_cmp_eq_u32_sdwa vcc, v16, v30 src0_sel:WORD_0 src1_sel:DWORD
	v_cndmask_b32_e32 v15, v15, v16, vcc
; %bb.575:                              ;   in Loop: Header=BB12_528 Depth=2
	s_or_b64 exec, exec, s[22:23]
	v_lshlrev_b32_e32 v16, 16, v19
	s_waitcnt vmcnt(3)
	v_lshlrev_b32_e32 v21, 16, v20
	v_add_f32_e32 v21, v16, v21
	v_and_b32_e32 v16, 0x7f800000, v21
	v_cmp_ne_u32_e32 vcc, s48, v16
                                        ; implicit-def: $vgpr16
	s_and_saveexec_b64 s[22:23], vcc
	s_xor_b64 s[22:23], exec, s[22:23]
; %bb.576:                              ;   in Loop: Header=BB12_528 Depth=2
	v_bfe_u32 v16, v21, 16, 1
	v_add3_u32 v16, v21, v16, s49
                                        ; implicit-def: $vgpr21
; %bb.577:                              ;   in Loop: Header=BB12_528 Depth=2
	s_andn2_saveexec_b64 s[22:23], s[22:23]
; %bb.578:                              ;   in Loop: Header=BB12_528 Depth=2
	v_or_b32_e32 v16, 0x10000, v21
	v_cmp_eq_u32_sdwa vcc, v21, v30 src0_sel:WORD_0 src1_sel:DWORD
	v_cndmask_b32_e32 v16, v16, v21, vcc
; %bb.579:                              ;   in Loop: Header=BB12_528 Depth=2
	s_or_b64 exec, exec, s[22:23]
	v_and_b32_e32 v19, 0xffff0000, v19
	v_and_b32_e32 v20, 0xffff0000, v20
	v_add_f32_e32 v20, v19, v20
	v_and_b32_e32 v19, 0x7f800000, v20
	v_cmp_ne_u32_e32 vcc, s48, v19
                                        ; implicit-def: $vgpr19
	s_and_saveexec_b64 s[22:23], vcc
	s_xor_b64 s[22:23], exec, s[22:23]
; %bb.580:                              ;   in Loop: Header=BB12_528 Depth=2
	v_bfe_u32 v19, v20, 16, 1
	v_add3_u32 v19, v20, v19, s49
                                        ; implicit-def: $vgpr20
; %bb.581:                              ;   in Loop: Header=BB12_528 Depth=2
	s_andn2_saveexec_b64 s[22:23], s[22:23]
; %bb.582:                              ;   in Loop: Header=BB12_528 Depth=2
	v_or_b32_e32 v19, 0x10000, v20
	v_cmp_eq_u32_sdwa vcc, v20, v30 src0_sel:WORD_0 src1_sel:DWORD
	v_cndmask_b32_e32 v19, v19, v20, vcc
; %bb.583:                              ;   in Loop: Header=BB12_528 Depth=2
	s_or_b64 exec, exec, s[22:23]
	v_lshlrev_b32_e32 v20, 16, v17
	s_waitcnt vmcnt(2)
	v_lshlrev_b32_e32 v21, 16, v18
	v_add_f32_e32 v21, v20, v21
	v_and_b32_e32 v20, 0x7f800000, v21
	v_cmp_ne_u32_e32 vcc, s48, v20
                                        ; implicit-def: $vgpr20
	s_and_saveexec_b64 s[22:23], vcc
	s_xor_b64 s[22:23], exec, s[22:23]
; %bb.584:                              ;   in Loop: Header=BB12_528 Depth=2
	v_bfe_u32 v20, v21, 16, 1
	v_add3_u32 v20, v21, v20, s49
                                        ; implicit-def: $vgpr21
; %bb.585:                              ;   in Loop: Header=BB12_528 Depth=2
	s_andn2_saveexec_b64 s[22:23], s[22:23]
; %bb.586:                              ;   in Loop: Header=BB12_528 Depth=2
	v_or_b32_e32 v20, 0x10000, v21
	v_cmp_eq_u32_sdwa vcc, v21, v30 src0_sel:WORD_0 src1_sel:DWORD
	v_cndmask_b32_e32 v20, v20, v21, vcc
; %bb.587:                              ;   in Loop: Header=BB12_528 Depth=2
	s_or_b64 exec, exec, s[22:23]
	v_and_b32_e32 v17, 0xffff0000, v17
	v_and_b32_e32 v18, 0xffff0000, v18
	v_add_f32_e32 v18, v17, v18
	v_and_b32_e32 v17, 0x7f800000, v18
	v_cmp_ne_u32_e32 vcc, s48, v17
                                        ; implicit-def: $vgpr17
	s_and_saveexec_b64 s[22:23], vcc
	s_xor_b64 s[22:23], exec, s[22:23]
; %bb.588:                              ;   in Loop: Header=BB12_528 Depth=2
	v_bfe_u32 v17, v18, 16, 1
	v_add3_u32 v17, v18, v17, s49
                                        ; implicit-def: $vgpr18
; %bb.589:                              ;   in Loop: Header=BB12_528 Depth=2
	s_andn2_saveexec_b64 s[22:23], s[22:23]
; %bb.590:                              ;   in Loop: Header=BB12_528 Depth=2
	v_or_b32_e32 v17, 0x10000, v18
	v_cmp_eq_u32_sdwa vcc, v18, v30 src0_sel:WORD_0 src1_sel:DWORD
	v_cndmask_b32_e32 v17, v17, v18, vcc
; %bb.591:                              ;   in Loop: Header=BB12_528 Depth=2
	s_or_b64 exec, exec, s[22:23]
	s_waitcnt vmcnt(0)
	v_lshlrev_b32_e32 v18, 16, v14
	v_lshlrev_b32_e32 v21, 16, v13
	v_add_f32_e32 v21, v18, v21
	v_and_b32_e32 v18, 0x7f800000, v21
	v_cmp_ne_u32_e32 vcc, s48, v18
                                        ; implicit-def: $vgpr18
	s_and_saveexec_b64 s[22:23], vcc
	s_xor_b64 s[22:23], exec, s[22:23]
; %bb.592:                              ;   in Loop: Header=BB12_528 Depth=2
	v_bfe_u32 v18, v21, 16, 1
	v_add3_u32 v18, v21, v18, s49
                                        ; implicit-def: $vgpr21
; %bb.593:                              ;   in Loop: Header=BB12_528 Depth=2
	s_andn2_saveexec_b64 s[22:23], s[22:23]
; %bb.594:                              ;   in Loop: Header=BB12_528 Depth=2
	v_or_b32_e32 v18, 0x10000, v21
	v_cmp_eq_u32_sdwa vcc, v21, v30 src0_sel:WORD_0 src1_sel:DWORD
	v_cndmask_b32_e32 v18, v18, v21, vcc
; %bb.595:                              ;   in Loop: Header=BB12_528 Depth=2
	s_or_b64 exec, exec, s[22:23]
	v_and_b32_e32 v14, 0xffff0000, v14
	v_and_b32_e32 v13, 0xffff0000, v13
	v_add_f32_e32 v14, v14, v13
	v_and_b32_e32 v13, 0x7f800000, v14
	v_cmp_ne_u32_e32 vcc, s48, v13
                                        ; implicit-def: $vgpr13
	s_and_saveexec_b64 s[22:23], vcc
	s_xor_b64 s[22:23], exec, s[22:23]
; %bb.596:                              ;   in Loop: Header=BB12_528 Depth=2
	v_bfe_u32 v13, v14, 16, 1
	v_add3_u32 v13, v14, v13, s49
                                        ; implicit-def: $vgpr14
; %bb.597:                              ;   in Loop: Header=BB12_528 Depth=2
	s_andn2_saveexec_b64 s[22:23], s[22:23]
; %bb.598:                              ;   in Loop: Header=BB12_528 Depth=2
	v_or_b32_e32 v13, 0x10000, v14
	v_cmp_eq_u32_sdwa vcc, v14, v30 src0_sel:WORD_0 src1_sel:DWORD
	v_cndmask_b32_e32 v13, v13, v14, vcc
; %bb.599:                              ;   in Loop: Header=BB12_528 Depth=2
	s_or_b64 exec, exec, s[22:23]
	buffer_load_dword v14, off, s[0:3], s33 offset:232 ; 4-byte Folded Reload
	v_lshrrev_b32_e32 v12, 16, v12
	v_and_or_b32 v15, v15, s50, v12
	v_lshrrev_b32_e32 v12, 16, v20
	v_and_or_b32 v17, v17, s50, v12
	;; [unrolled: 2-line block ×3, first 2 shown]
	s_waitcnt vmcnt(0)
	v_sub_u32_e32 v8, v8, v14
	v_lshrrev_b32_e32 v14, 16, v16
	v_and_or_b32 v16, v19, s50, v14
	buffer_store_dword v16, off, s[0:3], s33 offset:68
	buffer_store_dword v15, off, s[0:3], s33 offset:64
	;; [unrolled: 1-line block ×4, first 2 shown]
	global_store_dwordx4 v[0:1], v[15:18], off glc slc
	v_add_co_u32_e32 v0, vcc, 0x400, v0
	v_addc_co_u32_e32 v1, vcc, 0, v1, vcc
	s_and_saveexec_b64 s[22:23], s[78:79]
	s_cbranch_execz .LBB12_527
; %bb.600:                              ;   in Loop: Header=BB12_528 Depth=2
	buffer_load_dword v12, off, s[0:3], s33 offset:232 ; 4-byte Folded Reload
	v_add_co_u32_e32 v7, vcc, v7, v45
	v_addc_co_u32_e32 v9, vcc, v9, v46, vcc
	v_add_co_u32_e32 v10, vcc, v10, v45
	v_addc_co_u32_e32 v11, vcc, v11, v46, vcc
	;; [unrolled: 2-line block ×3, first 2 shown]
	v_sub_u32_e32 v6, v6, v43
	s_waitcnt vmcnt(0)
	v_sub_u32_e32 v8, v8, v12
	s_branch .LBB12_527
.LBB12_601:                             ;   in Loop: Header=BB12_49 Depth=1
	s_or_b64 exec, exec, s[74:75]
	s_and_b64 s[74:75], s[76:77], exec
.LBB12_602:                             ;   in Loop: Header=BB12_49 Depth=1
	s_or_b64 exec, exec, s[72:73]
	s_and_saveexec_b64 s[22:23], s[74:75]
	s_cbranch_execz .LBB12_636
; %bb.603:                              ;   in Loop: Header=BB12_49 Depth=1
	buffer_load_dword v10, off, s[0:3], s33 offset:96
	buffer_load_dword v14, off, s[0:3], s33 offset:100
	;; [unrolled: 1-line block ×8, first 2 shown]
	s_waitcnt vmcnt(7)
	v_lshlrev_b32_e32 v6, 16, v10
	s_waitcnt vmcnt(4)
	v_lshlrev_b32_e32 v16, 16, v11
	v_add_f32_e32 v16, v6, v16
	v_and_b32_e32 v6, 0x7f800000, v16
	v_cmp_ne_u32_e32 vcc, s48, v6
                                        ; implicit-def: $vgpr6
	s_and_saveexec_b64 s[72:73], vcc
	s_xor_b64 s[72:73], exec, s[72:73]
; %bb.604:                              ;   in Loop: Header=BB12_49 Depth=1
	v_bfe_u32 v6, v16, 16, 1
	v_add3_u32 v6, v16, v6, s49
                                        ; implicit-def: $vgpr16
; %bb.605:                              ;   in Loop: Header=BB12_49 Depth=1
	s_andn2_saveexec_b64 s[72:73], s[72:73]
; %bb.606:                              ;   in Loop: Header=BB12_49 Depth=1
	v_or_b32_e32 v6, 0x10000, v16
	v_cmp_eq_u32_sdwa vcc, v16, v30 src0_sel:WORD_0 src1_sel:DWORD
	v_cndmask_b32_e32 v6, v6, v16, vcc
; %bb.607:                              ;   in Loop: Header=BB12_49 Depth=1
	s_or_b64 exec, exec, s[72:73]
	v_and_b32_e32 v10, 0xffff0000, v10
	v_and_b32_e32 v11, 0xffff0000, v11
	v_add_f32_e32 v11, v10, v11
	v_and_b32_e32 v10, 0x7f800000, v11
	v_cmp_ne_u32_e32 vcc, s48, v10
                                        ; implicit-def: $vgpr10
	s_and_saveexec_b64 s[72:73], vcc
	s_xor_b64 s[72:73], exec, s[72:73]
; %bb.608:                              ;   in Loop: Header=BB12_49 Depth=1
	v_bfe_u32 v10, v11, 16, 1
	v_add3_u32 v10, v11, v10, s49
                                        ; implicit-def: $vgpr11
; %bb.609:                              ;   in Loop: Header=BB12_49 Depth=1
	s_andn2_saveexec_b64 s[72:73], s[72:73]
; %bb.610:                              ;   in Loop: Header=BB12_49 Depth=1
	v_or_b32_e32 v10, 0x10000, v11
	v_cmp_eq_u32_sdwa vcc, v11, v30 src0_sel:WORD_0 src1_sel:DWORD
	v_cndmask_b32_e32 v10, v10, v11, vcc
; %bb.611:                              ;   in Loop: Header=BB12_49 Depth=1
	s_or_b64 exec, exec, s[72:73]
	v_lshlrev_b32_e32 v11, 16, v14
	s_waitcnt vmcnt(3)
	v_lshlrev_b32_e32 v16, 16, v15
	v_add_f32_e32 v16, v11, v16
	v_and_b32_e32 v11, 0x7f800000, v16
	v_cmp_ne_u32_e32 vcc, s48, v11
                                        ; implicit-def: $vgpr11
	s_and_saveexec_b64 s[72:73], vcc
	s_xor_b64 s[72:73], exec, s[72:73]
; %bb.612:                              ;   in Loop: Header=BB12_49 Depth=1
	v_bfe_u32 v11, v16, 16, 1
	v_add3_u32 v11, v16, v11, s49
                                        ; implicit-def: $vgpr16
; %bb.613:                              ;   in Loop: Header=BB12_49 Depth=1
	s_andn2_saveexec_b64 s[72:73], s[72:73]
; %bb.614:                              ;   in Loop: Header=BB12_49 Depth=1
	v_or_b32_e32 v11, 0x10000, v16
	v_cmp_eq_u32_sdwa vcc, v16, v30 src0_sel:WORD_0 src1_sel:DWORD
	v_cndmask_b32_e32 v11, v11, v16, vcc
; %bb.615:                              ;   in Loop: Header=BB12_49 Depth=1
	s_or_b64 exec, exec, s[72:73]
	v_and_b32_e32 v14, 0xffff0000, v14
	v_and_b32_e32 v15, 0xffff0000, v15
	v_add_f32_e32 v15, v14, v15
	v_and_b32_e32 v14, 0x7f800000, v15
	v_cmp_ne_u32_e32 vcc, s48, v14
                                        ; implicit-def: $vgpr14
	s_and_saveexec_b64 s[72:73], vcc
	s_xor_b64 s[72:73], exec, s[72:73]
; %bb.616:                              ;   in Loop: Header=BB12_49 Depth=1
	v_bfe_u32 v14, v15, 16, 1
	v_add3_u32 v14, v15, v14, s49
                                        ; implicit-def: $vgpr15
; %bb.617:                              ;   in Loop: Header=BB12_49 Depth=1
	s_andn2_saveexec_b64 s[72:73], s[72:73]
; %bb.618:                              ;   in Loop: Header=BB12_49 Depth=1
	v_or_b32_e32 v14, 0x10000, v15
	v_cmp_eq_u32_sdwa vcc, v15, v30 src0_sel:WORD_0 src1_sel:DWORD
	v_cndmask_b32_e32 v14, v14, v15, vcc
; %bb.619:                              ;   in Loop: Header=BB12_49 Depth=1
	s_or_b64 exec, exec, s[72:73]
	v_lshlrev_b32_e32 v15, 16, v12
	s_waitcnt vmcnt(2)
	v_lshlrev_b32_e32 v16, 16, v13
	v_add_f32_e32 v16, v15, v16
	v_and_b32_e32 v15, 0x7f800000, v16
	v_cmp_ne_u32_e32 vcc, s48, v15
                                        ; implicit-def: $vgpr15
	s_and_saveexec_b64 s[72:73], vcc
	s_xor_b64 s[72:73], exec, s[72:73]
; %bb.620:                              ;   in Loop: Header=BB12_49 Depth=1
	v_bfe_u32 v15, v16, 16, 1
	v_add3_u32 v15, v16, v15, s49
                                        ; implicit-def: $vgpr16
; %bb.621:                              ;   in Loop: Header=BB12_49 Depth=1
	s_andn2_saveexec_b64 s[72:73], s[72:73]
; %bb.622:                              ;   in Loop: Header=BB12_49 Depth=1
	v_or_b32_e32 v15, 0x10000, v16
	v_cmp_eq_u32_sdwa vcc, v16, v30 src0_sel:WORD_0 src1_sel:DWORD
	v_cndmask_b32_e32 v15, v15, v16, vcc
; %bb.623:                              ;   in Loop: Header=BB12_49 Depth=1
	s_or_b64 exec, exec, s[72:73]
	v_and_b32_e32 v12, 0xffff0000, v12
	v_and_b32_e32 v13, 0xffff0000, v13
	v_add_f32_e32 v13, v12, v13
	v_and_b32_e32 v12, 0x7f800000, v13
	v_cmp_ne_u32_e32 vcc, s48, v12
                                        ; implicit-def: $vgpr12
	s_and_saveexec_b64 s[72:73], vcc
	s_xor_b64 s[72:73], exec, s[72:73]
; %bb.624:                              ;   in Loop: Header=BB12_49 Depth=1
	v_bfe_u32 v12, v13, 16, 1
	v_add3_u32 v12, v13, v12, s49
                                        ; implicit-def: $vgpr13
; %bb.625:                              ;   in Loop: Header=BB12_49 Depth=1
	s_andn2_saveexec_b64 s[72:73], s[72:73]
; %bb.626:                              ;   in Loop: Header=BB12_49 Depth=1
	v_or_b32_e32 v12, 0x10000, v13
	v_cmp_eq_u32_sdwa vcc, v13, v30 src0_sel:WORD_0 src1_sel:DWORD
	v_cndmask_b32_e32 v12, v12, v13, vcc
; %bb.627:                              ;   in Loop: Header=BB12_49 Depth=1
	s_or_b64 exec, exec, s[72:73]
	s_waitcnt vmcnt(0)
	v_lshlrev_b32_e32 v13, 16, v9
	v_lshlrev_b32_e32 v16, 16, v7
	v_add_f32_e32 v16, v13, v16
	v_and_b32_e32 v13, 0x7f800000, v16
	v_cmp_ne_u32_e32 vcc, s48, v13
                                        ; implicit-def: $vgpr13
	s_and_saveexec_b64 s[72:73], vcc
	s_xor_b64 s[72:73], exec, s[72:73]
; %bb.628:                              ;   in Loop: Header=BB12_49 Depth=1
	v_bfe_u32 v13, v16, 16, 1
	v_add3_u32 v13, v16, v13, s49
                                        ; implicit-def: $vgpr16
; %bb.629:                              ;   in Loop: Header=BB12_49 Depth=1
	s_andn2_saveexec_b64 s[72:73], s[72:73]
; %bb.630:                              ;   in Loop: Header=BB12_49 Depth=1
	v_or_b32_e32 v13, 0x10000, v16
	v_cmp_eq_u32_sdwa vcc, v16, v30 src0_sel:WORD_0 src1_sel:DWORD
	v_cndmask_b32_e32 v13, v13, v16, vcc
; %bb.631:                              ;   in Loop: Header=BB12_49 Depth=1
	s_or_b64 exec, exec, s[72:73]
	v_and_b32_e32 v9, 0xffff0000, v9
	v_and_b32_e32 v7, 0xffff0000, v7
	v_add_f32_e32 v9, v9, v7
	v_and_b32_e32 v7, 0x7f800000, v9
	v_cmp_ne_u32_e32 vcc, s48, v7
                                        ; implicit-def: $vgpr7
	s_and_saveexec_b64 s[72:73], vcc
	s_xor_b64 s[72:73], exec, s[72:73]
; %bb.632:                              ;   in Loop: Header=BB12_49 Depth=1
	v_bfe_u32 v7, v9, 16, 1
	v_add3_u32 v7, v9, v7, s49
                                        ; implicit-def: $vgpr9
; %bb.633:                              ;   in Loop: Header=BB12_49 Depth=1
	s_andn2_saveexec_b64 s[72:73], s[72:73]
; %bb.634:                              ;   in Loop: Header=BB12_49 Depth=1
	v_or_b32_e32 v7, 0x10000, v9
	v_cmp_eq_u32_sdwa vcc, v9, v30 src0_sel:WORD_0 src1_sel:DWORD
	v_cndmask_b32_e32 v7, v7, v9, vcc
; %bb.635:                              ;   in Loop: Header=BB12_49 Depth=1
	s_or_b64 exec, exec, s[72:73]
	v_lshrrev_b32_e32 v6, 16, v6
	v_and_or_b32 v10, v10, s50, v6
	v_lshrrev_b32_e32 v6, 16, v15
	v_lshrrev_b32_e32 v9, 16, v11
	v_and_or_b32 v12, v12, s50, v6
	v_lshrrev_b32_e32 v6, 16, v13
	v_and_or_b32 v11, v14, s50, v9
	v_and_or_b32 v13, v7, s50, v6
	global_store_dwordx4 v[0:1], v[10:13], off glc slc
.LBB12_636:                             ;   in Loop: Header=BB12_49 Depth=1
	s_or_b64 exec, exec, s[22:23]
	v_and_b32_e32 v1, 14, v42
	v_cndmask_b32_e64 v42, v5, v1, s[20:21]
	v_cmp_ne_u32_e32 vcc, 0, v42
	s_mov_b64 s[72:73], s[60:61]
                                        ; implicit-def: $vgpr6
                                        ; implicit-def: $vgpr7
                                        ; implicit-def: $vgpr0
	s_and_saveexec_b64 s[22:23], vcc
	s_cbranch_execz .LBB12_638
; %bb.637:                              ;   in Loop: Header=BB12_49 Depth=1
	v_sub_u32_e32 v0, v5, v1
	v_cndmask_b32_e64 v0, 0, v0, s[20:21]
	v_add3_u32 v6, v4, v2, v0
	buffer_load_dword v0, off, s[0:3], s33 offset:232 ; 4-byte Folded Reload
	v_cmp_lt_i32_e32 vcc, 0, v8
	s_or_b64 s[72:73], s[60:61], exec
	s_waitcnt vmcnt(0)
	v_cndmask_b32_e32 v0, 0, v0, vcc
	v_sub_u32_e32 v0, v0, v8
	v_lshl_add_u32 v1, v0, 6, v3
	v_ashrrev_i32_e32 v0, 31, v1
	v_lshrrev_b32_e32 v0, 26, v0
	v_add_u32_e32 v2, v1, v0
	v_ashrrev_i32_e32 v0, 6, v2
	v_and_b32_e32 v2, 0xffffffc0, v2
	v_sub_u32_e32 v7, v1, v2
.LBB12_638:                             ;   in Loop: Header=BB12_49 Depth=1
	s_or_b64 exec, exec, s[22:23]
	s_andn2_b64 s[20:21], s[60:61], exec
	s_and_b64 s[22:23], s[72:73], exec
	s_or_b64 s[60:61], s[20:21], s[22:23]
.LBB12_639:                             ;   in Loop: Header=BB12_49 Depth=1
	s_or_b64 exec, exec, s[62:63]
	s_and_saveexec_b64 s[22:23], s[60:61]
	s_cbranch_execz .LBB12_867
.LBB12_640:                             ;   in Loop: Header=BB12_49 Depth=1
	buffer_store_dword v55, off, s[0:3], s33 offset:480 ; 4-byte Folded Spill
	buffer_store_dword v41, off, s[0:3], s33 offset:472 ; 4-byte Folded Spill
	s_nop 0
	buffer_store_dword v42, off, s[0:3], s33 offset:476 ; 4-byte Folded Spill
	buffer_store_dword v48, off, s[0:3], s33 offset:464 ; 4-byte Folded Spill
	s_nop 0
	buffer_store_dword v49, off, s[0:3], s33 offset:468 ; 4-byte Folded Spill
	v_lshlrev_b32_e32 v1, 11, v0
	s_waitcnt vmcnt(5)
	v_lshlrev_b32_e32 v2, 1, v7
	v_add3_u32 v20, v6, v2, v1
	v_ashrrev_i32_e32 v21, 31, v20
	buffer_store_dword v7, off, s[0:3], s33 offset:372 ; 4-byte Folded Spill
	buffer_store_dword v6, off, s[0:3], s33 offset:368 ; 4-byte Folded Spill
	v_mov_b32_e32 v8, 0
	s_mov_b64 s[60:61], 0
	v_mov_b32_e32 v12, 0
	v_mov_b32_e32 v15, 0
	;; [unrolled: 1-line block ×30, first 2 shown]
	v_ashrrev_i32_e32 v1, 31, v42
	v_lshrrev_b32_e32 v1, 21, v1
	v_add_u32_e32 v1, v42, v1
	v_ashrrev_i32_e32 v1, 11, v1
	v_sub_u32_e32 v9, v1, v0
	v_add_co_u32_e32 v0, vcc, v28, v20
	buffer_store_dword v1, off, s[0:3], s33 offset:380 ; 4-byte Folded Spill
	v_addc_co_u32_e32 v1, vcc, v29, v21, vcc
	buffer_store_dword v42, off, s[0:3], s33 offset:500 ; 4-byte Folded Spill
	v_cmp_lt_i32_e32 vcc, 0, v9
	v_mov_b32_e32 v42, 0
	s_and_saveexec_b64 s[20:21], vcc
	s_cbranch_execz .LBB12_776
; %bb.641:                              ;   in Loop: Header=BB12_49 Depth=1
	buffer_store_dword v28, off, s[0:3], s33 offset:492 ; 4-byte Folded Spill
	s_nop 0
	buffer_store_dword v29, off, s[0:3], s33 offset:496 ; 4-byte Folded Spill
	buffer_store_dword v27, off, s[0:3], s33 offset:484 ; 4-byte Folded Spill
	;; [unrolled: 1-line block ×3, first 2 shown]
	s_trap 2
	ds_read_b64 v[4:5], v0
	buffer_load_dword v2, off, s[0:3], s33 offset:448 ; 4-byte Folded Reload
	buffer_load_dword v3, off, s[0:3], s33 offset:452 ; 4-byte Folded Reload
                                        ; implicit-def: $vgpr6
                                        ; kill: killed $vgpr6
                                        ; implicit-def: $vgpr6
                                        ; kill: killed $vgpr6
	;; [unrolled: 2-line block ×8, first 2 shown]
                                        ; implicit-def: $vgpr6
	s_mov_b64 s[72:73], 0
	s_mov_b64 s[62:63], 0
                                        ; kill: killed $vgpr6
                                        ; implicit-def: $vgpr6
                                        ; implicit-def: $sgpr60_sgpr61
                                        ; implicit-def: $vgpr62
                                        ; implicit-def: $vgpr7
                                        ; implicit-def: $vgpr60
                                        ; implicit-def: $vgpr24
                                        ; implicit-def: $vgpr46
                                        ; implicit-def: $vgpr43
                                        ; implicit-def: $vgpr40
                                        ; implicit-def: $vgpr53
                                        ; implicit-def: $vgpr50
                                        ; implicit-def: $vgpr39
                                        ; implicit-def: $vgpr35
                                        ; implicit-def: $vgpr33
                                        ; implicit-def: $vgpr32
                                        ; implicit-def: $vgpr31
                                        ; implicit-def: $vgpr29
                                        ; implicit-def: $vgpr28
                                        ; kill: killed $vgpr6
                                        ; implicit-def: $vgpr6
                                        ; kill: killed $vgpr6
                                        ; implicit-def: $vgpr22
                                        ; implicit-def: $vgpr23
                                        ; implicit-def: $vgpr26
                                        ; implicit-def: $vgpr27
	s_waitcnt vmcnt(1)
	v_add_co_u32_e32 v2, vcc, v20, v2
	s_waitcnt vmcnt(0)
	v_addc_co_u32_e32 v3, vcc, v21, v3, vcc
	s_waitcnt lgkmcnt(0)
	v_add_co_u32_e32 v4, vcc, v4, v20
	v_addc_co_u32_e32 v5, vcc, v5, v21, vcc
                                        ; implicit-def: $vgpr21
	s_branch .LBB12_643
.LBB12_642:                             ;   in Loop: Header=BB12_643 Depth=2
	s_or_b64 exec, exec, s[74:75]
	flat_store_short_d16_hi v[0:1], v17 glc slc
	flat_store_short_d16_hi v[0:1], v15 offset:128 glc slc
	flat_store_short_d16_hi v[0:1], v13 offset:256 glc slc
	;; [unrolled: 1-line block ×15, first 2 shown]
	buffer_load_dword v10, off, s[0:3], s33 offset:360 ; 4-byte Folded Reload
	buffer_load_dword v11, off, s[0:3], s33 offset:364 ; 4-byte Folded Reload
	buffer_load_dword v12, off, s[0:3], s33 offset:296 ; 4-byte Folded Reload
	buffer_load_dword v14, off, s[0:3], s33 offset:288 ; 4-byte Folded Reload
	v_mov_b32_e32 v13, 0x800
	s_waitcnt vmcnt(0)
	v_add_co_u32_e32 v6, vcc, v2, v10
	v_cndmask_b32_e64 v2, v2, v6, s[72:73]
	buffer_load_dword v6, off, s[0:3], s33 offset:232 ; 4-byte Folded Reload
	v_addc_co_u32_e32 v8, vcc, v3, v11, vcc
	v_add_co_u32_e32 v10, vcc, v4, v10
	v_addc_co_u32_e32 v11, vcc, v5, v11, vcc
	v_cndmask_b32_e64 v13, v13, v14, s[72:73]
	v_cndmask_b32_e64 v12, 0, v12, s[72:73]
	v_add_co_u32_e32 v0, vcc, v0, v13
	v_addc_co_u32_e32 v1, vcc, v1, v12, vcc
	v_cndmask_b32_e64 v3, v3, v8, s[72:73]
	v_cndmask_b32_e64 v5, v5, v11, s[72:73]
	;; [unrolled: 1-line block ×3, first 2 shown]
	s_waitcnt vmcnt(0)
	v_cndmask_b32_e64 v6, 0, v6, s[72:73]
	v_sub_u32_e32 v9, v9, v6
	v_cmp_gt_i32_e32 vcc, 1, v9
	s_or_b64 s[62:63], vcc, s[62:63]
	s_andn2_b64 s[60:61], s[60:61], exec
	s_and_b64 s[74:75], s[72:73], exec
	s_or_b64 s[60:61], s[60:61], s[74:75]
	s_andn2_b64 exec, exec, s[62:63]
	s_cbranch_execz .LBB12_775
.LBB12_643:                             ;   Parent Loop BB12_49 Depth=1
                                        ; =>  This Inner Loop Header: Depth=2
	flat_load_ushort v17, v[2:3] glc slc
	flat_load_ushort v15, v[2:3] offset:128 glc slc
	flat_load_ushort v13, v[2:3] offset:256 glc slc
	;; [unrolled: 1-line block ×15, first 2 shown]
	flat_load_ushort v18, v[4:5] glc slc
	flat_load_ushort v16, v[4:5] offset:128 glc slc
	flat_load_ushort v14, v[4:5] offset:256 glc slc
	;; [unrolled: 1-line block ×15, first 2 shown]
	s_and_saveexec_b64 s[74:75], s[72:73]
	s_cbranch_execz .LBB12_709
; %bb.644:                              ;   in Loop: Header=BB12_643 Depth=2
	buffer_load_dword v20, off, s[0:3], s33 offset:168 ; 4-byte Folded Reload
	v_lshlrev_b32_e32 v19, 16, v62
	s_waitcnt vmcnt(0)
	v_lshlrev_b32_e32 v62, 16, v20
	v_add_f32_e32 v19, v19, v62
	v_and_b32_e32 v62, 0x7f800000, v19
	v_cmp_ne_u32_e32 vcc, s48, v62
                                        ; implicit-def: $vgpr62
	s_and_saveexec_b64 s[72:73], vcc
	s_xor_b64 s[72:73], exec, s[72:73]
; %bb.645:                              ;   in Loop: Header=BB12_643 Depth=2
	v_bfe_u32 v62, v19, 16, 1
	v_add3_u32 v62, v19, v62, s49
                                        ; implicit-def: $vgpr19
; %bb.646:                              ;   in Loop: Header=BB12_643 Depth=2
	s_andn2_saveexec_b64 s[72:73], s[72:73]
; %bb.647:                              ;   in Loop: Header=BB12_643 Depth=2
	v_or_b32_e32 v62, 0x10000, v19
	v_cmp_eq_u32_sdwa vcc, v19, v30 src0_sel:WORD_0 src1_sel:DWORD
	v_cndmask_b32_e32 v62, v62, v19, vcc
; %bb.648:                              ;   in Loop: Header=BB12_643 Depth=2
	s_or_b64 exec, exec, s[72:73]
	buffer_load_dword v19, off, s[0:3], s33 offset:184 ; 4-byte Folded Reload
	v_lshlrev_b32_e32 v7, 16, v7
	s_waitcnt vmcnt(0)
	v_lshlrev_b32_e32 v19, 16, v19
	v_add_f32_e32 v19, v7, v19
	v_and_b32_e32 v7, 0x7f800000, v19
	v_cmp_ne_u32_e32 vcc, s48, v7
                                        ; implicit-def: $vgpr7
	s_and_saveexec_b64 s[72:73], vcc
	s_xor_b64 s[72:73], exec, s[72:73]
; %bb.649:                              ;   in Loop: Header=BB12_643 Depth=2
	v_bfe_u32 v7, v19, 16, 1
	v_add3_u32 v7, v19, v7, s49
                                        ; implicit-def: $vgpr19
; %bb.650:                              ;   in Loop: Header=BB12_643 Depth=2
	s_andn2_saveexec_b64 s[72:73], s[72:73]
; %bb.651:                              ;   in Loop: Header=BB12_643 Depth=2
	v_or_b32_e32 v7, 0x10000, v19
	v_cmp_eq_u32_sdwa vcc, v19, v30 src0_sel:WORD_0 src1_sel:DWORD
	v_cndmask_b32_e32 v7, v7, v19, vcc
; %bb.652:                              ;   in Loop: Header=BB12_643 Depth=2
	s_or_b64 exec, exec, s[72:73]
	buffer_load_dword v20, off, s[0:3], s33 offset:200 ; 4-byte Folded Reload
	v_lshlrev_b32_e32 v19, 16, v60
	s_waitcnt vmcnt(0)
	v_lshlrev_b32_e32 v60, 16, v20
	v_add_f32_e32 v19, v19, v60
	v_and_b32_e32 v60, 0x7f800000, v19
	v_cmp_ne_u32_e32 vcc, s48, v60
                                        ; implicit-def: $vgpr60
	s_and_saveexec_b64 s[72:73], vcc
	s_xor_b64 s[72:73], exec, s[72:73]
; %bb.653:                              ;   in Loop: Header=BB12_643 Depth=2
	v_bfe_u32 v60, v19, 16, 1
	v_add3_u32 v60, v19, v60, s49
                                        ; implicit-def: $vgpr19
; %bb.654:                              ;   in Loop: Header=BB12_643 Depth=2
	s_andn2_saveexec_b64 s[72:73], s[72:73]
; %bb.655:                              ;   in Loop: Header=BB12_643 Depth=2
	v_or_b32_e32 v60, 0x10000, v19
	v_cmp_eq_u32_sdwa vcc, v19, v30 src0_sel:WORD_0 src1_sel:DWORD
	v_cndmask_b32_e32 v60, v60, v19, vcc
; %bb.656:                              ;   in Loop: Header=BB12_643 Depth=2
	s_or_b64 exec, exec, s[72:73]
	buffer_load_dword v20, off, s[0:3], s33 offset:216 ; 4-byte Folded Reload
	v_lshlrev_b32_e32 v19, 16, v24
	s_waitcnt vmcnt(0)
	v_lshlrev_b32_e32 v24, 16, v20
	v_add_f32_e32 v19, v19, v24
	v_and_b32_e32 v24, 0x7f800000, v19
	v_cmp_ne_u32_e32 vcc, s48, v24
                                        ; implicit-def: $vgpr24
	s_and_saveexec_b64 s[72:73], vcc
	s_xor_b64 s[72:73], exec, s[72:73]
; %bb.657:                              ;   in Loop: Header=BB12_643 Depth=2
	v_bfe_u32 v24, v19, 16, 1
	v_add3_u32 v24, v19, v24, s49
                                        ; implicit-def: $vgpr19
; %bb.658:                              ;   in Loop: Header=BB12_643 Depth=2
	s_andn2_saveexec_b64 s[72:73], s[72:73]
; %bb.659:                              ;   in Loop: Header=BB12_643 Depth=2
	v_or_b32_e32 v24, 0x10000, v19
	v_cmp_eq_u32_sdwa vcc, v19, v30 src0_sel:WORD_0 src1_sel:DWORD
	v_cndmask_b32_e32 v24, v24, v19, vcc
; %bb.660:                              ;   in Loop: Header=BB12_643 Depth=2
	s_or_b64 exec, exec, s[72:73]
	buffer_load_dword v20, off, s[0:3], s33 offset:248 ; 4-byte Folded Reload
	v_lshlrev_b32_e32 v19, 16, v46
	s_waitcnt vmcnt(0)
	v_lshlrev_b32_e32 v46, 16, v20
	v_add_f32_e32 v19, v19, v46
	v_and_b32_e32 v46, 0x7f800000, v19
	v_cmp_ne_u32_e32 vcc, s48, v46
                                        ; implicit-def: $vgpr46
	s_and_saveexec_b64 s[72:73], vcc
	s_xor_b64 s[72:73], exec, s[72:73]
; %bb.661:                              ;   in Loop: Header=BB12_643 Depth=2
	v_bfe_u32 v46, v19, 16, 1
	v_add3_u32 v46, v19, v46, s49
                                        ; implicit-def: $vgpr19
; %bb.662:                              ;   in Loop: Header=BB12_643 Depth=2
	s_andn2_saveexec_b64 s[72:73], s[72:73]
; %bb.663:                              ;   in Loop: Header=BB12_643 Depth=2
	v_or_b32_e32 v46, 0x10000, v19
	v_cmp_eq_u32_sdwa vcc, v19, v30 src0_sel:WORD_0 src1_sel:DWORD
	v_cndmask_b32_e32 v46, v46, v19, vcc
; %bb.664:                              ;   in Loop: Header=BB12_643 Depth=2
	s_or_b64 exec, exec, s[72:73]
	buffer_load_dword v20, off, s[0:3], s33 offset:328 ; 4-byte Folded Reload
	v_lshlrev_b32_e32 v19, 16, v43
	s_waitcnt vmcnt(0)
	v_lshlrev_b32_e32 v43, 16, v20
	v_add_f32_e32 v19, v19, v43
	v_and_b32_e32 v43, 0x7f800000, v19
	v_cmp_ne_u32_e32 vcc, s48, v43
                                        ; implicit-def: $vgpr43
	s_and_saveexec_b64 s[72:73], vcc
	s_xor_b64 s[72:73], exec, s[72:73]
; %bb.665:                              ;   in Loop: Header=BB12_643 Depth=2
	v_bfe_u32 v43, v19, 16, 1
	v_add3_u32 v43, v19, v43, s49
                                        ; implicit-def: $vgpr19
; %bb.666:                              ;   in Loop: Header=BB12_643 Depth=2
	s_andn2_saveexec_b64 s[72:73], s[72:73]
; %bb.667:                              ;   in Loop: Header=BB12_643 Depth=2
	v_or_b32_e32 v43, 0x10000, v19
	v_cmp_eq_u32_sdwa vcc, v19, v30 src0_sel:WORD_0 src1_sel:DWORD
	v_cndmask_b32_e32 v43, v43, v19, vcc
; %bb.668:                              ;   in Loop: Header=BB12_643 Depth=2
	s_or_b64 exec, exec, s[72:73]
	buffer_load_dword v20, off, s[0:3], s33 offset:332 ; 4-byte Folded Reload
	v_lshlrev_b32_e32 v19, 16, v40
	s_waitcnt vmcnt(0)
	v_lshlrev_b32_e32 v40, 16, v20
	v_add_f32_e32 v19, v19, v40
	v_and_b32_e32 v40, 0x7f800000, v19
	v_cmp_ne_u32_e32 vcc, s48, v40
                                        ; implicit-def: $vgpr40
	s_and_saveexec_b64 s[72:73], vcc
	s_xor_b64 s[72:73], exec, s[72:73]
; %bb.669:                              ;   in Loop: Header=BB12_643 Depth=2
	v_bfe_u32 v40, v19, 16, 1
	v_add3_u32 v40, v19, v40, s49
                                        ; implicit-def: $vgpr19
; %bb.670:                              ;   in Loop: Header=BB12_643 Depth=2
	s_andn2_saveexec_b64 s[72:73], s[72:73]
; %bb.671:                              ;   in Loop: Header=BB12_643 Depth=2
	v_or_b32_e32 v40, 0x10000, v19
	v_cmp_eq_u32_sdwa vcc, v19, v30 src0_sel:WORD_0 src1_sel:DWORD
	v_cndmask_b32_e32 v40, v40, v19, vcc
; %bb.672:                              ;   in Loop: Header=BB12_643 Depth=2
	s_or_b64 exec, exec, s[72:73]
	buffer_load_dword v20, off, s[0:3], s33 offset:340 ; 4-byte Folded Reload
	v_lshlrev_b32_e32 v19, 16, v53
	s_waitcnt vmcnt(0)
	v_lshlrev_b32_e32 v53, 16, v20
	v_add_f32_e32 v19, v19, v53
	v_and_b32_e32 v53, 0x7f800000, v19
	v_cmp_ne_u32_e32 vcc, s48, v53
                                        ; implicit-def: $vgpr53
	s_and_saveexec_b64 s[72:73], vcc
	s_xor_b64 s[72:73], exec, s[72:73]
; %bb.673:                              ;   in Loop: Header=BB12_643 Depth=2
	v_bfe_u32 v53, v19, 16, 1
	v_add3_u32 v53, v19, v53, s49
                                        ; implicit-def: $vgpr19
; %bb.674:                              ;   in Loop: Header=BB12_643 Depth=2
	s_andn2_saveexec_b64 s[72:73], s[72:73]
; %bb.675:                              ;   in Loop: Header=BB12_643 Depth=2
	v_or_b32_e32 v53, 0x10000, v19
	v_cmp_eq_u32_sdwa vcc, v19, v30 src0_sel:WORD_0 src1_sel:DWORD
	v_cndmask_b32_e32 v53, v53, v19, vcc
; %bb.676:                              ;   in Loop: Header=BB12_643 Depth=2
	s_or_b64 exec, exec, s[72:73]
	buffer_load_dword v20, off, s[0:3], s33 offset:344 ; 4-byte Folded Reload
	v_lshlrev_b32_e32 v19, 16, v50
	s_waitcnt vmcnt(0)
	v_lshlrev_b32_e32 v50, 16, v20
	v_add_f32_e32 v19, v19, v50
	v_and_b32_e32 v50, 0x7f800000, v19
	v_cmp_ne_u32_e32 vcc, s48, v50
                                        ; implicit-def: $vgpr50
	s_and_saveexec_b64 s[72:73], vcc
	s_xor_b64 s[72:73], exec, s[72:73]
; %bb.677:                              ;   in Loop: Header=BB12_643 Depth=2
	v_bfe_u32 v50, v19, 16, 1
	v_add3_u32 v50, v19, v50, s49
                                        ; implicit-def: $vgpr19
; %bb.678:                              ;   in Loop: Header=BB12_643 Depth=2
	s_andn2_saveexec_b64 s[72:73], s[72:73]
; %bb.679:                              ;   in Loop: Header=BB12_643 Depth=2
	v_or_b32_e32 v50, 0x10000, v19
	v_cmp_eq_u32_sdwa vcc, v19, v30 src0_sel:WORD_0 src1_sel:DWORD
	v_cndmask_b32_e32 v50, v50, v19, vcc
; %bb.680:                              ;   in Loop: Header=BB12_643 Depth=2
	s_or_b64 exec, exec, s[72:73]
	buffer_load_dword v20, off, s[0:3], s33 offset:348 ; 4-byte Folded Reload
	v_lshlrev_b32_e32 v19, 16, v39
	s_waitcnt vmcnt(0)
	v_lshlrev_b32_e32 v39, 16, v20
	v_add_f32_e32 v19, v19, v39
	v_and_b32_e32 v39, 0x7f800000, v19
	v_cmp_ne_u32_e32 vcc, s48, v39
                                        ; implicit-def: $vgpr39
	s_and_saveexec_b64 s[72:73], vcc
	s_xor_b64 s[72:73], exec, s[72:73]
; %bb.681:                              ;   in Loop: Header=BB12_643 Depth=2
	v_bfe_u32 v39, v19, 16, 1
	v_add3_u32 v39, v19, v39, s49
                                        ; implicit-def: $vgpr19
; %bb.682:                              ;   in Loop: Header=BB12_643 Depth=2
	s_andn2_saveexec_b64 s[72:73], s[72:73]
; %bb.683:                              ;   in Loop: Header=BB12_643 Depth=2
	v_or_b32_e32 v39, 0x10000, v19
	v_cmp_eq_u32_sdwa vcc, v19, v30 src0_sel:WORD_0 src1_sel:DWORD
	v_cndmask_b32_e32 v39, v39, v19, vcc
; %bb.684:                              ;   in Loop: Header=BB12_643 Depth=2
	s_or_b64 exec, exec, s[72:73]
	buffer_load_dword v20, off, s[0:3], s33 offset:356 ; 4-byte Folded Reload
	v_lshlrev_b32_e32 v19, 16, v35
	s_waitcnt vmcnt(0)
	v_lshlrev_b32_e32 v35, 16, v20
	v_add_f32_e32 v19, v19, v35
	v_and_b32_e32 v35, 0x7f800000, v19
	v_cmp_ne_u32_e32 vcc, s48, v35
                                        ; implicit-def: $vgpr35
	s_and_saveexec_b64 s[72:73], vcc
	s_xor_b64 s[72:73], exec, s[72:73]
; %bb.685:                              ;   in Loop: Header=BB12_643 Depth=2
	v_bfe_u32 v35, v19, 16, 1
	v_add3_u32 v35, v19, v35, s49
                                        ; implicit-def: $vgpr19
; %bb.686:                              ;   in Loop: Header=BB12_643 Depth=2
	s_andn2_saveexec_b64 s[72:73], s[72:73]
; %bb.687:                              ;   in Loop: Header=BB12_643 Depth=2
	v_or_b32_e32 v35, 0x10000, v19
	v_cmp_eq_u32_sdwa vcc, v19, v30 src0_sel:WORD_0 src1_sel:DWORD
	v_cndmask_b32_e32 v35, v35, v19, vcc
; %bb.688:                              ;   in Loop: Header=BB12_643 Depth=2
	s_or_b64 exec, exec, s[72:73]
	v_lshlrev_b32_e32 v19, 16, v33
	v_lshlrev_b32_e32 v33, 16, v21
	v_add_f32_e32 v19, v19, v33
	v_and_b32_e32 v33, 0x7f800000, v19
	v_cmp_ne_u32_e32 vcc, s48, v33
                                        ; implicit-def: $vgpr33
	s_and_saveexec_b64 s[72:73], vcc
	s_xor_b64 s[72:73], exec, s[72:73]
; %bb.689:                              ;   in Loop: Header=BB12_643 Depth=2
	v_bfe_u32 v33, v19, 16, 1
	v_add3_u32 v33, v19, v33, s49
                                        ; implicit-def: $vgpr19
; %bb.690:                              ;   in Loop: Header=BB12_643 Depth=2
	s_andn2_saveexec_b64 s[72:73], s[72:73]
; %bb.691:                              ;   in Loop: Header=BB12_643 Depth=2
	v_or_b32_e32 v33, 0x10000, v19
	v_cmp_eq_u32_sdwa vcc, v19, v30 src0_sel:WORD_0 src1_sel:DWORD
	v_cndmask_b32_e32 v33, v33, v19, vcc
; %bb.692:                              ;   in Loop: Header=BB12_643 Depth=2
	s_or_b64 exec, exec, s[72:73]
	v_lshlrev_b32_e32 v19, 16, v32
	v_lshlrev_b32_e32 v32, 16, v22
	v_add_f32_e32 v19, v19, v32
	v_and_b32_e32 v32, 0x7f800000, v19
	v_cmp_ne_u32_e32 vcc, s48, v32
                                        ; implicit-def: $vgpr32
	s_and_saveexec_b64 s[72:73], vcc
	s_xor_b64 s[72:73], exec, s[72:73]
; %bb.693:                              ;   in Loop: Header=BB12_643 Depth=2
	v_bfe_u32 v32, v19, 16, 1
	v_add3_u32 v32, v19, v32, s49
                                        ; implicit-def: $vgpr19
; %bb.694:                              ;   in Loop: Header=BB12_643 Depth=2
	s_andn2_saveexec_b64 s[72:73], s[72:73]
; %bb.695:                              ;   in Loop: Header=BB12_643 Depth=2
	v_or_b32_e32 v32, 0x10000, v19
	v_cmp_eq_u32_sdwa vcc, v19, v30 src0_sel:WORD_0 src1_sel:DWORD
	v_cndmask_b32_e32 v32, v32, v19, vcc
; %bb.696:                              ;   in Loop: Header=BB12_643 Depth=2
	s_or_b64 exec, exec, s[72:73]
	v_lshlrev_b32_e32 v19, 16, v31
	v_lshlrev_b32_e32 v31, 16, v23
	v_add_f32_e32 v19, v19, v31
	v_and_b32_e32 v31, 0x7f800000, v19
	v_cmp_ne_u32_e32 vcc, s48, v31
                                        ; implicit-def: $vgpr31
	s_and_saveexec_b64 s[72:73], vcc
	s_xor_b64 s[72:73], exec, s[72:73]
; %bb.697:                              ;   in Loop: Header=BB12_643 Depth=2
	v_bfe_u32 v31, v19, 16, 1
	v_add3_u32 v31, v19, v31, s49
                                        ; implicit-def: $vgpr19
; %bb.698:                              ;   in Loop: Header=BB12_643 Depth=2
	s_andn2_saveexec_b64 s[72:73], s[72:73]
; %bb.699:                              ;   in Loop: Header=BB12_643 Depth=2
	v_or_b32_e32 v31, 0x10000, v19
	v_cmp_eq_u32_sdwa vcc, v19, v30 src0_sel:WORD_0 src1_sel:DWORD
	v_cndmask_b32_e32 v31, v31, v19, vcc
; %bb.700:                              ;   in Loop: Header=BB12_643 Depth=2
	s_or_b64 exec, exec, s[72:73]
	v_lshlrev_b32_e32 v19, 16, v29
	v_lshlrev_b32_e32 v29, 16, v26
	v_add_f32_e32 v19, v19, v29
	v_and_b32_e32 v29, 0x7f800000, v19
	v_cmp_ne_u32_e32 vcc, s48, v29
                                        ; implicit-def: $vgpr29
	s_and_saveexec_b64 s[72:73], vcc
	s_xor_b64 s[72:73], exec, s[72:73]
; %bb.701:                              ;   in Loop: Header=BB12_643 Depth=2
	v_bfe_u32 v29, v19, 16, 1
	v_add3_u32 v29, v19, v29, s49
                                        ; implicit-def: $vgpr19
; %bb.702:                              ;   in Loop: Header=BB12_643 Depth=2
	s_andn2_saveexec_b64 s[72:73], s[72:73]
; %bb.703:                              ;   in Loop: Header=BB12_643 Depth=2
	v_or_b32_e32 v29, 0x10000, v19
	v_cmp_eq_u32_sdwa vcc, v19, v30 src0_sel:WORD_0 src1_sel:DWORD
	v_cndmask_b32_e32 v29, v29, v19, vcc
; %bb.704:                              ;   in Loop: Header=BB12_643 Depth=2
	s_or_b64 exec, exec, s[72:73]
	v_lshlrev_b32_e32 v19, 16, v28
	v_lshlrev_b32_e32 v28, 16, v27
	v_add_f32_e32 v19, v19, v28
	v_and_b32_e32 v28, 0x7f800000, v19
	v_cmp_ne_u32_e32 vcc, s48, v28
                                        ; implicit-def: $vgpr28
	s_and_saveexec_b64 s[72:73], vcc
	s_xor_b64 s[72:73], exec, s[72:73]
; %bb.705:                              ;   in Loop: Header=BB12_643 Depth=2
	v_bfe_u32 v28, v19, 16, 1
	v_add3_u32 v28, v19, v28, s49
                                        ; implicit-def: $vgpr19
; %bb.706:                              ;   in Loop: Header=BB12_643 Depth=2
	s_andn2_saveexec_b64 s[72:73], s[72:73]
; %bb.707:                              ;   in Loop: Header=BB12_643 Depth=2
	v_or_b32_e32 v28, 0x10000, v19
	v_cmp_eq_u32_sdwa vcc, v19, v30 src0_sel:WORD_0 src1_sel:DWORD
	v_cndmask_b32_e32 v28, v28, v19, vcc
; %bb.708:                              ;   in Loop: Header=BB12_643 Depth=2
	s_or_b64 exec, exec, s[72:73]
	v_lshrrev_b32_e32 v62, 16, v62
	v_lshrrev_b32_e32 v29, 16, v29
	;; [unrolled: 1-line block ×16, first 2 shown]
	flat_store_short v[0:1], v62 glc slc
	flat_store_short v[0:1], v7 offset:128 glc slc
	flat_store_short v[0:1], v60 offset:256 glc slc
	;; [unrolled: 1-line block ×15, first 2 shown]
	buffer_load_dword v19, off, s[0:3], s33 offset:288 ; 4-byte Folded Reload
	s_waitcnt vmcnt(0)
	v_add_co_u32_e32 v0, vcc, v0, v19
	buffer_load_dword v19, off, s[0:3], s33 offset:296 ; 4-byte Folded Reload
	s_waitcnt vmcnt(0)
	v_addc_co_u32_e32 v1, vcc, v1, v19, vcc
.LBB12_709:                             ;   in Loop: Header=BB12_643 Depth=2
	s_or_b64 exec, exec, s[74:75]
	buffer_load_dword v19, off, s[0:3], s33 offset:288 ; 4-byte Folded Reload
	buffer_load_dword v20, off, s[0:3], s33 offset:296 ; 4-byte Folded Reload
	s_waitcnt vmcnt(0)
	v_add_co_u32_e32 v2, vcc, v2, v19
	v_addc_co_u32_e32 v3, vcc, v3, v20, vcc
	v_add_co_u32_e32 v4, vcc, v4, v19
	buffer_load_dword v19, off, s[0:3], s33 offset:232 ; 4-byte Folded Reload
	v_addc_co_u32_e32 v5, vcc, v5, v20, vcc
	s_waitcnt vmcnt(0)
	v_sub_u32_e32 v9, v9, v19
	v_cmp_lt_i32_e64 s[72:73], 0, v9
	s_and_saveexec_b64 s[74:75], s[72:73]
	s_cbranch_execz .LBB12_711
; %bb.710:                              ;   in Loop: Header=BB12_643 Depth=2
	flat_load_ushort v62, v[2:3] glc slc
	flat_load_ushort v7, v[2:3] offset:128 glc slc
	flat_load_ushort v60, v[2:3] offset:256 glc slc
	;; [unrolled: 1-line block ×15, first 2 shown]
	flat_load_ushort v19, v[4:5] glc slc
	v_add_co_u32_e32 v2, vcc, s38, v2
	v_addc_co_u32_e32 v3, vcc, 0, v3, vcc
	s_waitcnt vmcnt(0) lgkmcnt(0)
	buffer_store_dword v19, off, s[0:3], s33 offset:168 ; 4-byte Folded Spill
	flat_load_ushort v19, v[4:5] offset:128 glc slc
	s_waitcnt vmcnt(0) lgkmcnt(0)
	buffer_store_dword v19, off, s[0:3], s33 offset:184 ; 4-byte Folded Spill
	flat_load_ushort v19, v[4:5] offset:256 glc slc
	;; [unrolled: 3-line block ×11, first 2 shown]
	flat_load_ushort v22, v[4:5] offset:1536 glc slc
	flat_load_ushort v23, v[4:5] offset:1664 glc slc
	;; [unrolled: 1-line block ×4, first 2 shown]
	v_add_co_u32_e32 v4, vcc, 0x800, v4
	v_addc_co_u32_e32 v5, vcc, 0, v5, vcc
.LBB12_711:                             ;   in Loop: Header=BB12_643 Depth=2
	s_or_b64 exec, exec, s[74:75]
	s_waitcnt lgkmcnt(0)
	v_lshlrev_b32_e32 v17, 16, v17
	v_lshlrev_b32_e32 v18, 16, v18
	v_add_f32_e32 v18, v17, v18
	v_and_b32_e32 v17, 0x7f800000, v18
	v_cmp_ne_u32_e32 vcc, s48, v17
                                        ; implicit-def: $vgpr17
	s_and_saveexec_b64 s[74:75], vcc
	s_xor_b64 s[74:75], exec, s[74:75]
; %bb.712:                              ;   in Loop: Header=BB12_643 Depth=2
	v_bfe_u32 v17, v18, 16, 1
	v_add3_u32 v17, v18, v17, s49
                                        ; implicit-def: $vgpr18
; %bb.713:                              ;   in Loop: Header=BB12_643 Depth=2
	s_andn2_saveexec_b64 s[74:75], s[74:75]
; %bb.714:                              ;   in Loop: Header=BB12_643 Depth=2
	v_or_b32_e32 v17, 0x10000, v18
	v_cmp_eq_u32_sdwa vcc, v18, v30 src0_sel:WORD_0 src1_sel:DWORD
	v_cndmask_b32_e32 v17, v17, v18, vcc
; %bb.715:                              ;   in Loop: Header=BB12_643 Depth=2
	s_or_b64 exec, exec, s[74:75]
	v_lshlrev_b32_e32 v15, 16, v15
	v_lshlrev_b32_e32 v16, 16, v16
	v_add_f32_e32 v16, v15, v16
	v_and_b32_e32 v15, 0x7f800000, v16
	v_cmp_ne_u32_e32 vcc, s48, v15
                                        ; implicit-def: $vgpr15
	s_and_saveexec_b64 s[74:75], vcc
	s_xor_b64 s[74:75], exec, s[74:75]
; %bb.716:                              ;   in Loop: Header=BB12_643 Depth=2
	v_bfe_u32 v15, v16, 16, 1
	v_add3_u32 v15, v16, v15, s49
                                        ; implicit-def: $vgpr16
; %bb.717:                              ;   in Loop: Header=BB12_643 Depth=2
	s_andn2_saveexec_b64 s[74:75], s[74:75]
; %bb.718:                              ;   in Loop: Header=BB12_643 Depth=2
	v_or_b32_e32 v15, 0x10000, v16
	v_cmp_eq_u32_sdwa vcc, v16, v30 src0_sel:WORD_0 src1_sel:DWORD
	v_cndmask_b32_e32 v15, v15, v16, vcc
; %bb.719:                              ;   in Loop: Header=BB12_643 Depth=2
	s_or_b64 exec, exec, s[74:75]
	v_lshlrev_b32_e32 v13, 16, v13
	v_lshlrev_b32_e32 v14, 16, v14
	v_add_f32_e32 v14, v13, v14
	v_and_b32_e32 v13, 0x7f800000, v14
	v_cmp_ne_u32_e32 vcc, s48, v13
                                        ; implicit-def: $vgpr13
	s_and_saveexec_b64 s[74:75], vcc
	s_xor_b64 s[74:75], exec, s[74:75]
; %bb.720:                              ;   in Loop: Header=BB12_643 Depth=2
	v_bfe_u32 v13, v14, 16, 1
	v_add3_u32 v13, v14, v13, s49
                                        ; implicit-def: $vgpr14
; %bb.721:                              ;   in Loop: Header=BB12_643 Depth=2
	s_andn2_saveexec_b64 s[74:75], s[74:75]
; %bb.722:                              ;   in Loop: Header=BB12_643 Depth=2
	v_or_b32_e32 v13, 0x10000, v14
	v_cmp_eq_u32_sdwa vcc, v14, v30 src0_sel:WORD_0 src1_sel:DWORD
	v_cndmask_b32_e32 v13, v13, v14, vcc
; %bb.723:                              ;   in Loop: Header=BB12_643 Depth=2
	s_or_b64 exec, exec, s[74:75]
	v_lshlrev_b32_e32 v11, 16, v11
	v_lshlrev_b32_e32 v12, 16, v12
	v_add_f32_e32 v12, v11, v12
	v_and_b32_e32 v11, 0x7f800000, v12
	v_cmp_ne_u32_e32 vcc, s48, v11
                                        ; implicit-def: $vgpr11
	s_and_saveexec_b64 s[74:75], vcc
	s_xor_b64 s[74:75], exec, s[74:75]
; %bb.724:                              ;   in Loop: Header=BB12_643 Depth=2
	v_bfe_u32 v11, v12, 16, 1
	v_add3_u32 v11, v12, v11, s49
                                        ; implicit-def: $vgpr12
; %bb.725:                              ;   in Loop: Header=BB12_643 Depth=2
	s_andn2_saveexec_b64 s[74:75], s[74:75]
; %bb.726:                              ;   in Loop: Header=BB12_643 Depth=2
	v_or_b32_e32 v11, 0x10000, v12
	v_cmp_eq_u32_sdwa vcc, v12, v30 src0_sel:WORD_0 src1_sel:DWORD
	v_cndmask_b32_e32 v11, v11, v12, vcc
; %bb.727:                              ;   in Loop: Header=BB12_643 Depth=2
	s_or_b64 exec, exec, s[74:75]
	v_lshlrev_b32_e32 v6, 16, v6
	v_lshlrev_b32_e32 v10, 16, v10
	v_add_f32_e32 v10, v6, v10
	v_and_b32_e32 v6, 0x7f800000, v10
	v_cmp_ne_u32_e32 vcc, s48, v6
                                        ; implicit-def: $vgpr6
	s_and_saveexec_b64 s[74:75], vcc
	s_xor_b64 s[74:75], exec, s[74:75]
; %bb.728:                              ;   in Loop: Header=BB12_643 Depth=2
	v_bfe_u32 v6, v10, 16, 1
	v_add3_u32 v6, v10, v6, s49
                                        ; implicit-def: $vgpr10
; %bb.729:                              ;   in Loop: Header=BB12_643 Depth=2
	s_andn2_saveexec_b64 s[74:75], s[74:75]
; %bb.730:                              ;   in Loop: Header=BB12_643 Depth=2
	v_or_b32_e32 v6, 0x10000, v10
	v_cmp_eq_u32_sdwa vcc, v10, v30 src0_sel:WORD_0 src1_sel:DWORD
	v_cndmask_b32_e32 v6, v6, v10, vcc
; %bb.731:                              ;   in Loop: Header=BB12_643 Depth=2
	s_or_b64 exec, exec, s[74:75]
	v_lshlrev_b32_e32 v10, 16, v25
	v_lshlrev_b32_e32 v8, 16, v8
	v_add_f32_e32 v10, v10, v8
	v_and_b32_e32 v8, 0x7f800000, v10
	v_cmp_ne_u32_e32 vcc, s48, v8
                                        ; implicit-def: $vgpr8
	s_and_saveexec_b64 s[74:75], vcc
	s_xor_b64 s[74:75], exec, s[74:75]
; %bb.732:                              ;   in Loop: Header=BB12_643 Depth=2
	v_bfe_u32 v8, v10, 16, 1
	v_add3_u32 v8, v10, v8, s49
                                        ; implicit-def: $vgpr10
; %bb.733:                              ;   in Loop: Header=BB12_643 Depth=2
	s_andn2_saveexec_b64 s[74:75], s[74:75]
; %bb.734:                              ;   in Loop: Header=BB12_643 Depth=2
	v_or_b32_e32 v8, 0x10000, v10
	v_cmp_eq_u32_sdwa vcc, v10, v30 src0_sel:WORD_0 src1_sel:DWORD
	v_cndmask_b32_e32 v8, v8, v10, vcc
; %bb.735:                              ;   in Loop: Header=BB12_643 Depth=2
	s_or_b64 exec, exec, s[74:75]
	v_lshlrev_b32_e32 v10, 16, v59
	v_lshlrev_b32_e32 v12, 16, v61
	v_add_f32_e32 v12, v10, v12
	v_and_b32_e32 v10, 0x7f800000, v12
	v_cmp_ne_u32_e32 vcc, s48, v10
                                        ; implicit-def: $vgpr10
	s_and_saveexec_b64 s[74:75], vcc
	s_xor_b64 s[74:75], exec, s[74:75]
; %bb.736:                              ;   in Loop: Header=BB12_643 Depth=2
	v_bfe_u32 v10, v12, 16, 1
	v_add3_u32 v10, v12, v10, s49
                                        ; implicit-def: $vgpr12
; %bb.737:                              ;   in Loop: Header=BB12_643 Depth=2
	s_andn2_saveexec_b64 s[74:75], s[74:75]
; %bb.738:                              ;   in Loop: Header=BB12_643 Depth=2
	v_or_b32_e32 v10, 0x10000, v12
	v_cmp_eq_u32_sdwa vcc, v12, v30 src0_sel:WORD_0 src1_sel:DWORD
	v_cndmask_b32_e32 v10, v10, v12, vcc
; %bb.739:                              ;   in Loop: Header=BB12_643 Depth=2
	s_or_b64 exec, exec, s[74:75]
	v_lshlrev_b32_e32 v12, 16, v57
	v_lshlrev_b32_e32 v14, 16, v58
	v_add_f32_e32 v14, v12, v14
	v_and_b32_e32 v12, 0x7f800000, v14
	v_cmp_ne_u32_e32 vcc, s48, v12
                                        ; implicit-def: $vgpr12
	s_and_saveexec_b64 s[74:75], vcc
	s_xor_b64 s[74:75], exec, s[74:75]
; %bb.740:                              ;   in Loop: Header=BB12_643 Depth=2
	v_bfe_u32 v12, v14, 16, 1
	v_add3_u32 v12, v14, v12, s49
                                        ; implicit-def: $vgpr14
; %bb.741:                              ;   in Loop: Header=BB12_643 Depth=2
	s_andn2_saveexec_b64 s[74:75], s[74:75]
; %bb.742:                              ;   in Loop: Header=BB12_643 Depth=2
	v_or_b32_e32 v12, 0x10000, v14
	v_cmp_eq_u32_sdwa vcc, v14, v30 src0_sel:WORD_0 src1_sel:DWORD
	v_cndmask_b32_e32 v12, v12, v14, vcc
; %bb.743:                              ;   in Loop: Header=BB12_643 Depth=2
	s_or_b64 exec, exec, s[74:75]
	v_lshlrev_b32_e32 v14, 16, v47
	v_lshlrev_b32_e32 v16, 16, v56
	v_add_f32_e32 v16, v14, v16
	v_and_b32_e32 v14, 0x7f800000, v16
	v_cmp_ne_u32_e32 vcc, s48, v14
                                        ; implicit-def: $vgpr14
	s_and_saveexec_b64 s[74:75], vcc
	s_xor_b64 s[74:75], exec, s[74:75]
; %bb.744:                              ;   in Loop: Header=BB12_643 Depth=2
	v_bfe_u32 v14, v16, 16, 1
	v_add3_u32 v14, v16, v14, s49
                                        ; implicit-def: $vgpr16
; %bb.745:                              ;   in Loop: Header=BB12_643 Depth=2
	s_andn2_saveexec_b64 s[74:75], s[74:75]
; %bb.746:                              ;   in Loop: Header=BB12_643 Depth=2
	v_or_b32_e32 v14, 0x10000, v16
	v_cmp_eq_u32_sdwa vcc, v16, v30 src0_sel:WORD_0 src1_sel:DWORD
	v_cndmask_b32_e32 v14, v14, v16, vcc
; %bb.747:                              ;   in Loop: Header=BB12_643 Depth=2
	s_or_b64 exec, exec, s[74:75]
	v_lshlrev_b32_e32 v16, 16, v44
	v_lshlrev_b32_e32 v18, 16, v45
	v_add_f32_e32 v18, v16, v18
	v_and_b32_e32 v16, 0x7f800000, v18
	v_cmp_ne_u32_e32 vcc, s48, v16
                                        ; implicit-def: $vgpr16
	s_and_saveexec_b64 s[74:75], vcc
	s_xor_b64 s[74:75], exec, s[74:75]
; %bb.748:                              ;   in Loop: Header=BB12_643 Depth=2
	v_bfe_u32 v16, v18, 16, 1
	v_add3_u32 v16, v18, v16, s49
                                        ; implicit-def: $vgpr18
; %bb.749:                              ;   in Loop: Header=BB12_643 Depth=2
	s_andn2_saveexec_b64 s[74:75], s[74:75]
; %bb.750:                              ;   in Loop: Header=BB12_643 Depth=2
	v_or_b32_e32 v16, 0x10000, v18
	v_cmp_eq_u32_sdwa vcc, v18, v30 src0_sel:WORD_0 src1_sel:DWORD
	v_cndmask_b32_e32 v16, v16, v18, vcc
; %bb.751:                              ;   in Loop: Header=BB12_643 Depth=2
	s_or_b64 exec, exec, s[74:75]
	v_lshlrev_b32_e32 v18, 16, v41
	v_lshlrev_b32_e32 v19, 16, v42
	v_add_f32_e32 v19, v18, v19
	v_and_b32_e32 v18, 0x7f800000, v19
	v_cmp_ne_u32_e32 vcc, s48, v18
                                        ; implicit-def: $vgpr18
	s_and_saveexec_b64 s[74:75], vcc
	s_xor_b64 s[74:75], exec, s[74:75]
; %bb.752:                              ;   in Loop: Header=BB12_643 Depth=2
	v_bfe_u32 v18, v19, 16, 1
	v_add3_u32 v18, v19, v18, s49
                                        ; implicit-def: $vgpr19
; %bb.753:                              ;   in Loop: Header=BB12_643 Depth=2
	s_andn2_saveexec_b64 s[74:75], s[74:75]
; %bb.754:                              ;   in Loop: Header=BB12_643 Depth=2
	v_or_b32_e32 v18, 0x10000, v19
	v_cmp_eq_u32_sdwa vcc, v19, v30 src0_sel:WORD_0 src1_sel:DWORD
	v_cndmask_b32_e32 v18, v18, v19, vcc
; %bb.755:                              ;   in Loop: Header=BB12_643 Depth=2
	s_or_b64 exec, exec, s[74:75]
	v_lshlrev_b32_e32 v19, 16, v54
	v_lshlrev_b32_e32 v25, 16, v55
	v_add_f32_e32 v19, v19, v25
	v_and_b32_e32 v25, 0x7f800000, v19
	v_cmp_ne_u32_e32 vcc, s48, v25
                                        ; implicit-def: $vgpr25
	s_and_saveexec_b64 s[74:75], vcc
	s_xor_b64 s[74:75], exec, s[74:75]
; %bb.756:                              ;   in Loop: Header=BB12_643 Depth=2
	v_bfe_u32 v25, v19, 16, 1
	v_add3_u32 v25, v19, v25, s49
                                        ; implicit-def: $vgpr19
; %bb.757:                              ;   in Loop: Header=BB12_643 Depth=2
	s_andn2_saveexec_b64 s[74:75], s[74:75]
; %bb.758:                              ;   in Loop: Header=BB12_643 Depth=2
	v_or_b32_e32 v25, 0x10000, v19
	v_cmp_eq_u32_sdwa vcc, v19, v30 src0_sel:WORD_0 src1_sel:DWORD
	v_cndmask_b32_e32 v25, v25, v19, vcc
; %bb.759:                              ;   in Loop: Header=BB12_643 Depth=2
	s_or_b64 exec, exec, s[74:75]
	v_lshlrev_b32_e32 v19, 16, v51
	v_lshlrev_b32_e32 v51, 16, v52
	v_add_f32_e32 v19, v19, v51
	v_and_b32_e32 v51, 0x7f800000, v19
	v_cmp_ne_u32_e32 vcc, s48, v51
                                        ; implicit-def: $vgpr51
	s_and_saveexec_b64 s[74:75], vcc
	s_xor_b64 s[74:75], exec, s[74:75]
; %bb.760:                              ;   in Loop: Header=BB12_643 Depth=2
	v_bfe_u32 v51, v19, 16, 1
	v_add3_u32 v51, v19, v51, s49
                                        ; implicit-def: $vgpr19
; %bb.761:                              ;   in Loop: Header=BB12_643 Depth=2
	s_andn2_saveexec_b64 s[74:75], s[74:75]
; %bb.762:                              ;   in Loop: Header=BB12_643 Depth=2
	v_or_b32_e32 v51, 0x10000, v19
	v_cmp_eq_u32_sdwa vcc, v19, v30 src0_sel:WORD_0 src1_sel:DWORD
	v_cndmask_b32_e32 v51, v51, v19, vcc
; %bb.763:                              ;   in Loop: Header=BB12_643 Depth=2
	s_or_b64 exec, exec, s[74:75]
	v_lshlrev_b32_e32 v19, 16, v48
	v_lshlrev_b32_e32 v48, 16, v49
	v_add_f32_e32 v19, v19, v48
	v_and_b32_e32 v48, 0x7f800000, v19
	v_cmp_ne_u32_e32 vcc, s48, v48
                                        ; implicit-def: $vgpr48
	s_and_saveexec_b64 s[74:75], vcc
	s_xor_b64 s[74:75], exec, s[74:75]
; %bb.764:                              ;   in Loop: Header=BB12_643 Depth=2
	v_bfe_u32 v48, v19, 16, 1
	v_add3_u32 v48, v19, v48, s49
                                        ; implicit-def: $vgpr19
; %bb.765:                              ;   in Loop: Header=BB12_643 Depth=2
	s_andn2_saveexec_b64 s[74:75], s[74:75]
; %bb.766:                              ;   in Loop: Header=BB12_643 Depth=2
	v_or_b32_e32 v48, 0x10000, v19
	v_cmp_eq_u32_sdwa vcc, v19, v30 src0_sel:WORD_0 src1_sel:DWORD
	v_cndmask_b32_e32 v48, v48, v19, vcc
; %bb.767:                              ;   in Loop: Header=BB12_643 Depth=2
	s_or_b64 exec, exec, s[74:75]
	v_lshlrev_b32_e32 v19, 16, v37
	v_lshlrev_b32_e32 v37, 16, v38
	v_add_f32_e32 v19, v19, v37
	v_and_b32_e32 v37, 0x7f800000, v19
	v_cmp_ne_u32_e32 vcc, s48, v37
                                        ; implicit-def: $vgpr37
	s_and_saveexec_b64 s[74:75], vcc
	s_xor_b64 s[74:75], exec, s[74:75]
; %bb.768:                              ;   in Loop: Header=BB12_643 Depth=2
	v_bfe_u32 v37, v19, 16, 1
	v_add3_u32 v37, v19, v37, s49
                                        ; implicit-def: $vgpr19
; %bb.769:                              ;   in Loop: Header=BB12_643 Depth=2
	s_andn2_saveexec_b64 s[74:75], s[74:75]
; %bb.770:                              ;   in Loop: Header=BB12_643 Depth=2
	v_or_b32_e32 v37, 0x10000, v19
	v_cmp_eq_u32_sdwa vcc, v19, v30 src0_sel:WORD_0 src1_sel:DWORD
	v_cndmask_b32_e32 v37, v37, v19, vcc
; %bb.771:                              ;   in Loop: Header=BB12_643 Depth=2
	s_or_b64 exec, exec, s[74:75]
	v_lshlrev_b32_e32 v19, 16, v34
	v_lshlrev_b32_e32 v34, 16, v36
	v_add_f32_e32 v19, v19, v34
	v_and_b32_e32 v34, 0x7f800000, v19
	v_cmp_ne_u32_e32 vcc, s48, v34
                                        ; implicit-def: $vgpr34
	s_and_saveexec_b64 s[74:75], vcc
	s_xor_b64 s[74:75], exec, s[74:75]
; %bb.772:                              ;   in Loop: Header=BB12_643 Depth=2
	v_bfe_u32 v34, v19, 16, 1
	v_add3_u32 v34, v19, v34, s49
                                        ; implicit-def: $vgpr19
; %bb.773:                              ;   in Loop: Header=BB12_643 Depth=2
	s_andn2_saveexec_b64 s[74:75], s[74:75]
	s_cbranch_execz .LBB12_642
; %bb.774:                              ;   in Loop: Header=BB12_643 Depth=2
	v_or_b32_e32 v34, 0x10000, v19
	v_cmp_eq_u32_sdwa vcc, v19, v30 src0_sel:WORD_0 src1_sel:DWORD
	v_cndmask_b32_e32 v34, v34, v19, vcc
	s_branch .LBB12_642
.LBB12_775:                             ;   in Loop: Header=BB12_49 Depth=1
	s_or_b64 exec, exec, s[62:63]
	buffer_load_dword v2, off, s[0:3], s33 offset:168 ; 4-byte Folded Reload
	v_lshlrev_b32_e32 v15, 16, v60
	v_lshlrev_b32_e32 v52, 16, v46
	;; [unrolled: 1-line block ×20, first 2 shown]
	s_and_b64 s[60:61], s[60:61], exec
	s_waitcnt vmcnt(0)
	v_lshlrev_b32_e32 v44, 16, v2
	buffer_load_dword v2, off, s[0:3], s33 offset:184 ; 4-byte Folded Reload
	s_waitcnt vmcnt(0)
	v_lshlrev_b32_e32 v42, 16, v2
	buffer_load_dword v2, off, s[0:3], s33 offset:200 ; 4-byte Folded Reload
	;; [unrolled: 3-line block ×10, first 2 shown]
	s_waitcnt vmcnt(0)
	v_lshlrev_b32_e32 v17, 16, v2
	v_lshlrev_b32_e32 v2, 16, v28
	buffer_load_dword v53, off, s[0:3], s33 offset:456 ; 4-byte Folded Reload
	buffer_load_dword v50, off, s[0:3], s33 offset:520 ; 4-byte Folded Reload
	;; [unrolled: 1-line block ×12, first 2 shown]
.LBB12_776:                             ;   in Loop: Header=BB12_49 Depth=1
	s_or_b64 exec, exec, s[20:21]
	s_and_saveexec_b64 s[20:21], s[60:61]
	s_cbranch_execz .LBB12_842
; %bb.777:                              ;   in Loop: Header=BB12_49 Depth=1
	v_add_f32_e32 v20, v44, v8
	v_and_b32_e32 v8, 0x7f800000, v20
	v_cmp_ne_u32_e32 vcc, s48, v8
                                        ; implicit-def: $vgpr8
	s_and_saveexec_b64 s[60:61], vcc
	s_xor_b64 s[60:61], exec, s[60:61]
; %bb.778:                              ;   in Loop: Header=BB12_49 Depth=1
	v_bfe_u32 v8, v20, 16, 1
	v_add3_u32 v8, v20, v8, s49
                                        ; implicit-def: $vgpr20
; %bb.779:                              ;   in Loop: Header=BB12_49 Depth=1
	s_andn2_saveexec_b64 s[60:61], s[60:61]
; %bb.780:                              ;   in Loop: Header=BB12_49 Depth=1
	v_or_b32_e32 v8, 0x10000, v20
	v_cmp_eq_u32_sdwa vcc, v20, v30 src0_sel:WORD_0 src1_sel:DWORD
	v_cndmask_b32_e32 v8, v8, v20, vcc
; %bb.781:                              ;   in Loop: Header=BB12_49 Depth=1
	s_or_b64 exec, exec, s[60:61]
	v_add_f32_e32 v20, v42, v12
	v_and_b32_e32 v12, 0x7f800000, v20
	v_cmp_ne_u32_e32 vcc, s48, v12
                                        ; implicit-def: $vgpr12
	s_and_saveexec_b64 s[60:61], vcc
	s_xor_b64 s[60:61], exec, s[60:61]
; %bb.782:                              ;   in Loop: Header=BB12_49 Depth=1
	v_bfe_u32 v12, v20, 16, 1
	v_add3_u32 v12, v20, v12, s49
                                        ; implicit-def: $vgpr20
; %bb.783:                              ;   in Loop: Header=BB12_49 Depth=1
	s_andn2_saveexec_b64 s[60:61], s[60:61]
; %bb.784:                              ;   in Loop: Header=BB12_49 Depth=1
	v_or_b32_e32 v12, 0x10000, v20
	v_cmp_eq_u32_sdwa vcc, v20, v30 src0_sel:WORD_0 src1_sel:DWORD
	v_cndmask_b32_e32 v12, v12, v20, vcc
; %bb.785:                              ;   in Loop: Header=BB12_49 Depth=1
	s_or_b64 exec, exec, s[60:61]
	v_add_f32_e32 v20, v41, v15
	v_and_b32_e32 v15, 0x7f800000, v20
	v_cmp_ne_u32_e32 vcc, s48, v15
                                        ; implicit-def: $vgpr15
	s_and_saveexec_b64 s[60:61], vcc
	s_xor_b64 s[60:61], exec, s[60:61]
; %bb.786:                              ;   in Loop: Header=BB12_49 Depth=1
	v_bfe_u32 v15, v20, 16, 1
	v_add3_u32 v15, v20, v15, s49
                                        ; implicit-def: $vgpr20
; %bb.787:                              ;   in Loop: Header=BB12_49 Depth=1
	s_andn2_saveexec_b64 s[60:61], s[60:61]
; %bb.788:                              ;   in Loop: Header=BB12_49 Depth=1
	v_or_b32_e32 v15, 0x10000, v20
	v_cmp_eq_u32_sdwa vcc, v20, v30 src0_sel:WORD_0 src1_sel:DWORD
	v_cndmask_b32_e32 v15, v15, v20, vcc
; %bb.789:                              ;   in Loop: Header=BB12_49 Depth=1
	s_or_b64 exec, exec, s[60:61]
	v_add_f32_e32 v20, v55, v18
	v_and_b32_e32 v18, 0x7f800000, v20
	v_cmp_ne_u32_e32 vcc, s48, v18
                                        ; implicit-def: $vgpr18
	s_and_saveexec_b64 s[60:61], vcc
	s_xor_b64 s[60:61], exec, s[60:61]
; %bb.790:                              ;   in Loop: Header=BB12_49 Depth=1
	v_bfe_u32 v18, v20, 16, 1
	v_add3_u32 v18, v20, v18, s49
                                        ; implicit-def: $vgpr20
; %bb.791:                              ;   in Loop: Header=BB12_49 Depth=1
	s_andn2_saveexec_b64 s[60:61], s[60:61]
; %bb.792:                              ;   in Loop: Header=BB12_49 Depth=1
	v_or_b32_e32 v18, 0x10000, v20
	v_cmp_eq_u32_sdwa vcc, v20, v30 src0_sel:WORD_0 src1_sel:DWORD
	v_cndmask_b32_e32 v18, v18, v20, vcc
; %bb.793:                              ;   in Loop: Header=BB12_49 Depth=1
	s_or_b64 exec, exec, s[60:61]
	v_add_f32_e32 v21, v54, v52
	v_and_b32_e32 v20, 0x7f800000, v21
	v_cmp_ne_u32_e32 vcc, s48, v20
                                        ; implicit-def: $vgpr20
	s_and_saveexec_b64 s[60:61], vcc
	s_xor_b64 s[60:61], exec, s[60:61]
; %bb.794:                              ;   in Loop: Header=BB12_49 Depth=1
	v_bfe_u32 v20, v21, 16, 1
	v_add3_u32 v20, v21, v20, s49
                                        ; implicit-def: $vgpr21
; %bb.795:                              ;   in Loop: Header=BB12_49 Depth=1
	s_andn2_saveexec_b64 s[60:61], s[60:61]
; %bb.796:                              ;   in Loop: Header=BB12_49 Depth=1
	v_or_b32_e32 v20, 0x10000, v21
	v_cmp_eq_u32_sdwa vcc, v21, v30 src0_sel:WORD_0 src1_sel:DWORD
	v_cndmask_b32_e32 v20, v20, v21, vcc
; %bb.797:                              ;   in Loop: Header=BB12_49 Depth=1
	s_or_b64 exec, exec, s[60:61]
	v_add_f32_e32 v22, v51, v49
	v_and_b32_e32 v21, 0x7f800000, v22
	v_cmp_ne_u32_e32 vcc, s48, v21
                                        ; implicit-def: $vgpr21
	s_and_saveexec_b64 s[60:61], vcc
	s_xor_b64 s[60:61], exec, s[60:61]
; %bb.798:                              ;   in Loop: Header=BB12_49 Depth=1
	v_bfe_u32 v21, v22, 16, 1
	v_add3_u32 v21, v22, v21, s49
                                        ; implicit-def: $vgpr22
; %bb.799:                              ;   in Loop: Header=BB12_49 Depth=1
	s_andn2_saveexec_b64 s[60:61], s[60:61]
; %bb.800:                              ;   in Loop: Header=BB12_49 Depth=1
	v_or_b32_e32 v21, 0x10000, v22
	v_cmp_eq_u32_sdwa vcc, v22, v30 src0_sel:WORD_0 src1_sel:DWORD
	v_cndmask_b32_e32 v21, v21, v22, vcc
; %bb.801:                              ;   in Loop: Header=BB12_49 Depth=1
	s_or_b64 exec, exec, s[60:61]
	v_add_f32_e32 v23, v48, v38
	v_and_b32_e32 v22, 0x7f800000, v23
	v_cmp_ne_u32_e32 vcc, s48, v22
                                        ; implicit-def: $vgpr22
	s_and_saveexec_b64 s[60:61], vcc
	s_xor_b64 s[60:61], exec, s[60:61]
; %bb.802:                              ;   in Loop: Header=BB12_49 Depth=1
	v_bfe_u32 v22, v23, 16, 1
	v_add3_u32 v22, v23, v22, s49
                                        ; implicit-def: $vgpr23
; %bb.803:                              ;   in Loop: Header=BB12_49 Depth=1
	s_andn2_saveexec_b64 s[60:61], s[60:61]
; %bb.804:                              ;   in Loop: Header=BB12_49 Depth=1
	v_or_b32_e32 v22, 0x10000, v23
	v_cmp_eq_u32_sdwa vcc, v23, v30 src0_sel:WORD_0 src1_sel:DWORD
	v_cndmask_b32_e32 v22, v22, v23, vcc
; %bb.805:                              ;   in Loop: Header=BB12_49 Depth=1
	s_or_b64 exec, exec, s[60:61]
	v_add_f32_e32 v26, v37, v36
	v_and_b32_e32 v23, 0x7f800000, v26
	v_cmp_ne_u32_e32 vcc, s48, v23
                                        ; implicit-def: $vgpr23
	s_and_saveexec_b64 s[60:61], vcc
	s_xor_b64 s[60:61], exec, s[60:61]
; %bb.806:                              ;   in Loop: Header=BB12_49 Depth=1
	v_bfe_u32 v23, v26, 16, 1
	v_add3_u32 v23, v26, v23, s49
                                        ; implicit-def: $vgpr26
; %bb.807:                              ;   in Loop: Header=BB12_49 Depth=1
	s_andn2_saveexec_b64 s[60:61], s[60:61]
; %bb.808:                              ;   in Loop: Header=BB12_49 Depth=1
	v_or_b32_e32 v23, 0x10000, v26
	v_cmp_eq_u32_sdwa vcc, v26, v30 src0_sel:WORD_0 src1_sel:DWORD
	v_cndmask_b32_e32 v23, v23, v26, vcc
; %bb.809:                              ;   in Loop: Header=BB12_49 Depth=1
	s_or_b64 exec, exec, s[60:61]
	v_add_f32_e32 v26, v34, v25
	v_and_b32_e32 v25, 0x7f800000, v26
	v_cmp_ne_u32_e32 vcc, s48, v25
                                        ; implicit-def: $vgpr25
	s_and_saveexec_b64 s[60:61], vcc
	s_xor_b64 s[60:61], exec, s[60:61]
; %bb.810:                              ;   in Loop: Header=BB12_49 Depth=1
	v_bfe_u32 v25, v26, 16, 1
	v_add3_u32 v25, v26, v25, s49
                                        ; implicit-def: $vgpr26
; %bb.811:                              ;   in Loop: Header=BB12_49 Depth=1
	s_andn2_saveexec_b64 s[60:61], s[60:61]
; %bb.812:                              ;   in Loop: Header=BB12_49 Depth=1
	v_or_b32_e32 v25, 0x10000, v26
	v_cmp_eq_u32_sdwa vcc, v26, v30 src0_sel:WORD_0 src1_sel:DWORD
	v_cndmask_b32_e32 v25, v25, v26, vcc
; %bb.813:                              ;   in Loop: Header=BB12_49 Depth=1
	s_or_b64 exec, exec, s[60:61]
	v_add_f32_e32 v24, v19, v24
	v_and_b32_e32 v19, 0x7f800000, v24
	v_cmp_ne_u32_e32 vcc, s48, v19
                                        ; implicit-def: $vgpr19
	s_and_saveexec_b64 s[60:61], vcc
	s_xor_b64 s[60:61], exec, s[60:61]
; %bb.814:                              ;   in Loop: Header=BB12_49 Depth=1
	v_bfe_u32 v19, v24, 16, 1
	v_add3_u32 v19, v24, v19, s49
                                        ; implicit-def: $vgpr24
; %bb.815:                              ;   in Loop: Header=BB12_49 Depth=1
	s_andn2_saveexec_b64 s[60:61], s[60:61]
; %bb.816:                              ;   in Loop: Header=BB12_49 Depth=1
	v_or_b32_e32 v19, 0x10000, v24
	v_cmp_eq_u32_sdwa vcc, v24, v30 src0_sel:WORD_0 src1_sel:DWORD
	v_cndmask_b32_e32 v19, v19, v24, vcc
; %bb.817:                              ;   in Loop: Header=BB12_49 Depth=1
	s_or_b64 exec, exec, s[60:61]
	v_add_f32_e32 v17, v17, v16
	v_and_b32_e32 v16, 0x7f800000, v17
	v_cmp_ne_u32_e32 vcc, s48, v16
                                        ; implicit-def: $vgpr16
	s_and_saveexec_b64 s[60:61], vcc
	s_xor_b64 s[60:61], exec, s[60:61]
; %bb.818:                              ;   in Loop: Header=BB12_49 Depth=1
	v_bfe_u32 v16, v17, 16, 1
	v_add3_u32 v16, v17, v16, s49
                                        ; implicit-def: $vgpr17
; %bb.819:                              ;   in Loop: Header=BB12_49 Depth=1
	s_andn2_saveexec_b64 s[60:61], s[60:61]
; %bb.820:                              ;   in Loop: Header=BB12_49 Depth=1
	v_or_b32_e32 v16, 0x10000, v17
	v_cmp_eq_u32_sdwa vcc, v17, v30 src0_sel:WORD_0 src1_sel:DWORD
	v_cndmask_b32_e32 v16, v16, v17, vcc
; %bb.821:                              ;   in Loop: Header=BB12_49 Depth=1
	s_or_b64 exec, exec, s[60:61]
	v_add_f32_e32 v14, v14, v13
	v_and_b32_e32 v13, 0x7f800000, v14
	v_cmp_ne_u32_e32 vcc, s48, v13
                                        ; implicit-def: $vgpr13
	s_and_saveexec_b64 s[60:61], vcc
	s_xor_b64 s[60:61], exec, s[60:61]
; %bb.822:                              ;   in Loop: Header=BB12_49 Depth=1
	v_bfe_u32 v13, v14, 16, 1
	v_add3_u32 v13, v14, v13, s49
                                        ; implicit-def: $vgpr14
; %bb.823:                              ;   in Loop: Header=BB12_49 Depth=1
	s_andn2_saveexec_b64 s[60:61], s[60:61]
; %bb.824:                              ;   in Loop: Header=BB12_49 Depth=1
	v_or_b32_e32 v13, 0x10000, v14
	v_cmp_eq_u32_sdwa vcc, v14, v30 src0_sel:WORD_0 src1_sel:DWORD
	v_cndmask_b32_e32 v13, v13, v14, vcc
; %bb.825:                              ;   in Loop: Header=BB12_49 Depth=1
	s_or_b64 exec, exec, s[60:61]
	v_add_f32_e32 v11, v11, v10
	v_and_b32_e32 v10, 0x7f800000, v11
	v_cmp_ne_u32_e32 vcc, s48, v10
                                        ; implicit-def: $vgpr10
	s_and_saveexec_b64 s[60:61], vcc
	s_xor_b64 s[60:61], exec, s[60:61]
; %bb.826:                              ;   in Loop: Header=BB12_49 Depth=1
	v_bfe_u32 v10, v11, 16, 1
	v_add3_u32 v10, v11, v10, s49
                                        ; implicit-def: $vgpr11
; %bb.827:                              ;   in Loop: Header=BB12_49 Depth=1
	s_andn2_saveexec_b64 s[60:61], s[60:61]
; %bb.828:                              ;   in Loop: Header=BB12_49 Depth=1
	v_or_b32_e32 v10, 0x10000, v11
	v_cmp_eq_u32_sdwa vcc, v11, v30 src0_sel:WORD_0 src1_sel:DWORD
	v_cndmask_b32_e32 v10, v10, v11, vcc
; %bb.829:                              ;   in Loop: Header=BB12_49 Depth=1
	s_or_b64 exec, exec, s[60:61]
	v_add_f32_e32 v7, v7, v6
	v_and_b32_e32 v6, 0x7f800000, v7
	v_cmp_ne_u32_e32 vcc, s48, v6
                                        ; implicit-def: $vgpr6
	s_and_saveexec_b64 s[60:61], vcc
	s_xor_b64 s[60:61], exec, s[60:61]
; %bb.830:                              ;   in Loop: Header=BB12_49 Depth=1
	v_bfe_u32 v6, v7, 16, 1
	v_add3_u32 v6, v7, v6, s49
                                        ; implicit-def: $vgpr7
; %bb.831:                              ;   in Loop: Header=BB12_49 Depth=1
	s_andn2_saveexec_b64 s[60:61], s[60:61]
; %bb.832:                              ;   in Loop: Header=BB12_49 Depth=1
	v_or_b32_e32 v6, 0x10000, v7
	v_cmp_eq_u32_sdwa vcc, v7, v30 src0_sel:WORD_0 src1_sel:DWORD
	v_cndmask_b32_e32 v6, v6, v7, vcc
; %bb.833:                              ;   in Loop: Header=BB12_49 Depth=1
	s_or_b64 exec, exec, s[60:61]
	v_add_f32_e32 v5, v5, v4
	v_and_b32_e32 v4, 0x7f800000, v5
	v_cmp_ne_u32_e32 vcc, s48, v4
                                        ; implicit-def: $vgpr4
	s_and_saveexec_b64 s[60:61], vcc
	s_xor_b64 s[60:61], exec, s[60:61]
; %bb.834:                              ;   in Loop: Header=BB12_49 Depth=1
	v_bfe_u32 v4, v5, 16, 1
	v_add3_u32 v4, v5, v4, s49
                                        ; implicit-def: $vgpr5
; %bb.835:                              ;   in Loop: Header=BB12_49 Depth=1
	s_andn2_saveexec_b64 s[60:61], s[60:61]
; %bb.836:                              ;   in Loop: Header=BB12_49 Depth=1
	v_or_b32_e32 v4, 0x10000, v5
	v_cmp_eq_u32_sdwa vcc, v5, v30 src0_sel:WORD_0 src1_sel:DWORD
	v_cndmask_b32_e32 v4, v4, v5, vcc
; %bb.837:                              ;   in Loop: Header=BB12_49 Depth=1
	s_or_b64 exec, exec, s[60:61]
	v_add_f32_e32 v3, v3, v2
	v_and_b32_e32 v2, 0x7f800000, v3
	v_cmp_ne_u32_e32 vcc, s48, v2
                                        ; implicit-def: $vgpr2
	s_and_saveexec_b64 s[60:61], vcc
	s_xor_b64 s[60:61], exec, s[60:61]
; %bb.838:                              ;   in Loop: Header=BB12_49 Depth=1
	v_bfe_u32 v2, v3, 16, 1
	v_add3_u32 v2, v3, v2, s49
                                        ; implicit-def: $vgpr3
; %bb.839:                              ;   in Loop: Header=BB12_49 Depth=1
	s_andn2_saveexec_b64 s[60:61], s[60:61]
; %bb.840:                              ;   in Loop: Header=BB12_49 Depth=1
	v_or_b32_e32 v2, 0x10000, v3
	v_cmp_eq_u32_sdwa vcc, v3, v30 src0_sel:WORD_0 src1_sel:DWORD
	v_cndmask_b32_e32 v2, v2, v3, vcc
; %bb.841:                              ;   in Loop: Header=BB12_49 Depth=1
	s_or_b64 exec, exec, s[60:61]
	flat_store_short_d16_hi v[0:1], v8 glc slc
	flat_store_short_d16_hi v[0:1], v12 offset:128 glc slc
	flat_store_short_d16_hi v[0:1], v15 offset:256 glc slc
	;; [unrolled: 1-line block ×15, first 2 shown]
.LBB12_842:                             ;   in Loop: Header=BB12_49 Depth=1
	s_or_b64 exec, exec, s[20:21]
	buffer_load_dword v0, off, s[0:3], s33 offset:380 ; 4-byte Folded Reload
	buffer_load_dword v4, off, s[0:3], s33 offset:500 ; 4-byte Folded Reload
	;; [unrolled: 1-line block ×13, first 2 shown]
	v_mov_b32_e32 v51, 1
	v_mov_b32_e32 v52, 0xc8
	;; [unrolled: 1-line block ×3, first 2 shown]
	s_waitcnt vmcnt(0)
	v_lshlrev_b32_e32 v0, 11, v0
	v_cmp_ne_u32_e32 vcc, v4, v0
	s_and_b64 s[20:21], exec, vcc
	s_mov_b64 exec, s[20:21]
	s_cbranch_execz .LBB12_867
; %bb.843:                              ;   in Loop: Header=BB12_49 Depth=1
	v_lshlrev_b32_e32 v1, 6, v9
	v_sub_u32_e32 v1, v2, v1
	v_ashrrev_i32_e32 v2, 31, v1
	v_lshrrev_b32_e32 v2, 26, v2
	v_add_u32_e32 v2, v1, v2
	v_and_b32_e32 v3, 0x7fffffc0, v2
	v_sub_u32_e32 v1, v1, v3
	v_lshlrev_b32_e32 v2, 1, v2
	v_and_b32_e32 v2, 0xffffff80, v2
	v_lshlrev_b32_e32 v1, 1, v1
	v_add3_u32 v0, v2, v1, v0
	v_sub_u32_e32 v2, v4, v0
	v_cmp_lt_i32_e32 vcc, 1, v2
	s_and_b64 exec, exec, vcc
	s_cbranch_execz .LBB12_867
; %bb.844:                              ;   in Loop: Header=BB12_49 Depth=1
	s_trap 2
	ds_read_b64 v[7:8], v0
	v_add_u32_e32 v3, v0, v5
	buffer_load_dword v4, off, s[0:3], s33 offset:448 ; 4-byte Folded Reload
	buffer_load_dword v5, off, s[0:3], s33 offset:452 ; 4-byte Folded Reload
	v_ashrrev_i32_e32 v9, 31, v3
	v_add_co_u32_e32 v0, vcc, v28, v3
	v_addc_co_u32_e32 v1, vcc, v29, v9, vcc
	s_mov_b64 s[72:73], 0
	s_mov_b64 s[60:61], 0
                                        ; implicit-def: $sgpr62_sgpr63
	s_waitcnt vmcnt(0)
	v_add_co_u32_e32 v6, vcc, v3, v4
	v_addc_co_u32_e32 v5, vcc, v9, v5, vcc
	s_waitcnt lgkmcnt(0)
	v_add_co_u32_e32 v4, vcc, v7, v3
	v_addc_co_u32_e32 v3, vcc, v8, v9, vcc
	s_branch .LBB12_846
.LBB12_845:                             ;   in Loop: Header=BB12_846 Depth=2
	s_or_b64 exec, exec, s[20:21]
	v_lshrrev_b32_e32 v7, 16, v8
	buffer_store_short v7, off, s[0:3], s33 offset:64
	flat_store_short v[0:1], v7 glc slc
	v_add_co_u32_e32 v7, vcc, v6, v13
	v_addc_co_u32_e32 v8, vcc, v5, v14, vcc
	v_add_co_u32_e32 v9, vcc, v4, v13
	v_mov_b32_e32 v12, 0x80
	v_addc_co_u32_e32 v10, vcc, v3, v14, vcc
	v_cndmask_b32_e64 v12, v12, v15, s[72:73]
	v_cndmask_b32_e64 v11, 0, v16, s[72:73]
	v_add_co_u32_e32 v0, vcc, v0, v12
	v_cndmask_b32_e64 v6, v6, v7, s[72:73]
	v_cndmask_b32_e64 v7, 0, v61, s[72:73]
	v_addc_co_u32_e32 v1, vcc, v1, v11, vcc
	v_sub_u32_e32 v2, v2, v7
	v_cmp_gt_i32_e32 vcc, 2, v2
	s_or_b64 s[60:61], vcc, s[60:61]
	s_andn2_b64 s[20:21], s[62:63], exec
	s_and_b64 s[62:63], s[72:73], exec
	v_cndmask_b32_e64 v3, v3, v10, s[72:73]
	v_cndmask_b32_e64 v4, v4, v9, s[72:73]
	;; [unrolled: 1-line block ×3, first 2 shown]
	s_or_b64 s[62:63], s[20:21], s[62:63]
	s_andn2_b64 exec, exec, s[60:61]
	s_cbranch_execz .LBB12_861
.LBB12_846:                             ;   Parent Loop BB12_49 Depth=1
                                        ; =>  This Loop Header: Depth=2
                                        ;       Child Loop BB12_847 Depth 3
                                        ;       Child Loop BB12_856 Depth 3
	s_lshr_b32 s78, s33, 6
	s_add_i32 s78, s78, 64
	s_mov_b64 s[74:75], -1
	s_mov_b64 s[76:77], 0
.LBB12_847:                             ;   Parent Loop BB12_49 Depth=1
                                        ;     Parent Loop BB12_846 Depth=2
                                        ; =>    This Inner Loop Header: Depth=3
	s_cmp_eq_u32 s76, 1
	s_cselect_b64 s[20:21], -1, 0
	v_cndmask_b32_e64 v8, v5, v3, s[20:21]
	v_cndmask_b32_e64 v7, v6, v4, s[20:21]
	flat_load_ushort v9, v[7:8] glc slc
	v_add_co_u32_e32 v7, vcc, 0x80, v7
	v_addc_co_u32_e32 v8, vcc, 0, v8, vcc
	s_cmp_eq_u32 s76, 0
	v_mov_b32_e32 v10, s78
	s_cselect_b64 vcc, -1, 0
	s_lshr_b32 s78, s33, 6
	s_addk_i32 s78, 0x60
	v_cndmask_b32_e64 v3, v3, v8, s[20:21]
	v_cndmask_b32_e64 v4, v4, v7, s[20:21]
	v_cndmask_b32_e32 v5, v5, v8, vcc
	v_cndmask_b32_e32 v6, v6, v7, vcc
	s_mov_b64 s[76:77], 1
	s_and_b64 vcc, exec, s[74:75]
	s_mov_b64 s[74:75], 0
	s_waitcnt vmcnt(0) lgkmcnt(0)
	buffer_store_short v9, v10, s[0:3], 0 offen
	s_cbranch_vccnz .LBB12_847
; %bb.848:                              ;   in Loop: Header=BB12_846 Depth=2
	s_and_saveexec_b64 s[20:21], s[72:73]
	s_cbranch_execz .LBB12_854
; %bb.849:                              ;   in Loop: Header=BB12_846 Depth=2
	buffer_load_ushort v7, off, s[0:3], s33 offset:62
	buffer_load_ushort v8, off, s[0:3], s33 offset:60
	s_waitcnt vmcnt(1)
	v_lshlrev_b32_e32 v7, 16, v7
	s_waitcnt vmcnt(0)
	v_lshlrev_b32_e32 v8, 16, v8
	v_add_f32_e32 v7, v8, v7
	v_and_b32_e32 v8, 0x7f800000, v7
	v_cmp_ne_u32_e32 vcc, s48, v8
                                        ; implicit-def: $vgpr8
	s_and_saveexec_b64 s[72:73], vcc
	s_xor_b64 s[72:73], exec, s[72:73]
; %bb.850:                              ;   in Loop: Header=BB12_846 Depth=2
	v_bfe_u32 v8, v7, 16, 1
	v_add3_u32 v8, v7, v8, s49
                                        ; implicit-def: $vgpr7
; %bb.851:                              ;   in Loop: Header=BB12_846 Depth=2
	s_andn2_saveexec_b64 s[72:73], s[72:73]
; %bb.852:                              ;   in Loop: Header=BB12_846 Depth=2
	v_or_b32_e32 v8, 0x10000, v7
	v_cmp_eq_u32_sdwa vcc, v7, v30 src0_sel:WORD_0 src1_sel:DWORD
	v_cndmask_b32_e32 v8, v8, v7, vcc
; %bb.853:                              ;   in Loop: Header=BB12_846 Depth=2
	s_or_b64 exec, exec, s[72:73]
	v_lshrrev_b32_e32 v7, 16, v8
	flat_store_short v[0:1], v7 glc slc
	v_add_co_u32_e32 v0, vcc, v0, v15
	v_addc_co_u32_e32 v1, vcc, v1, v16, vcc
	buffer_store_short v7, off, s[0:3], s33 offset:60
.LBB12_854:                             ;   in Loop: Header=BB12_846 Depth=2
	s_or_b64 exec, exec, s[20:21]
	v_add_co_u32_e32 v6, vcc, v6, v13
	v_addc_co_u32_e32 v5, vcc, v5, v14, vcc
	v_add_co_u32_e32 v4, vcc, v4, v13
	v_sub_u32_e32 v2, v2, v61
	v_addc_co_u32_e32 v3, vcc, v3, v14, vcc
	v_cmp_lt_i32_e64 s[72:73], 1, v2
	s_and_saveexec_b64 s[74:75], s[72:73]
	s_cbranch_execz .LBB12_857
; %bb.855:                              ;   in Loop: Header=BB12_846 Depth=2
	s_lshr_b32 s88, s33, 6
	s_add_i32 s88, s88, 60
	s_mov_b64 s[78:79], 0
	s_mov_b64 s[76:77], -1
.LBB12_856:                             ;   Parent Loop BB12_49 Depth=1
                                        ;     Parent Loop BB12_846 Depth=2
                                        ; =>    This Inner Loop Header: Depth=3
	s_cmp_eq_u32 s78, 1
	s_cselect_b64 s[20:21], -1, 0
	v_cndmask_b32_e64 v8, v5, v3, s[20:21]
	v_cndmask_b32_e64 v7, v6, v4, s[20:21]
	flat_load_ushort v9, v[7:8] glc slc
	v_add_co_u32_e32 v7, vcc, 0x80, v7
	v_addc_co_u32_e32 v8, vcc, 0, v8, vcc
	s_cmp_eq_u32 s78, 0
	v_mov_b32_e32 v10, s88
	s_cselect_b64 vcc, -1, 0
	s_lshr_b32 s88, s33, 6
	s_add_i32 s88, s88, 62
	v_cndmask_b32_e32 v5, v5, v8, vcc
	v_cndmask_b32_e32 v6, v6, v7, vcc
	v_cndmask_b32_e64 v3, v3, v8, s[20:21]
	v_cndmask_b32_e64 v4, v4, v7, s[20:21]
	s_mov_b64 s[78:79], 1
	s_and_b64 vcc, exec, s[76:77]
	s_mov_b64 s[76:77], 0
	s_waitcnt vmcnt(0) lgkmcnt(0)
	buffer_store_short v9, v10, s[0:3], 0 offen
	s_cbranch_vccnz .LBB12_856
.LBB12_857:                             ;   in Loop: Header=BB12_846 Depth=2
	s_or_b64 exec, exec, s[74:75]
	buffer_load_ushort v7, off, s[0:3], s33 offset:96
	buffer_load_ushort v8, off, s[0:3], s33 offset:64
	s_waitcnt vmcnt(0)
	v_lshlrev_b32_e32 v7, 16, v7
	v_lshlrev_b32_e32 v8, 16, v8
	v_add_f32_e32 v7, v8, v7
	v_and_b32_e32 v8, 0x7f800000, v7
	v_cmp_ne_u32_e32 vcc, s48, v8
                                        ; implicit-def: $vgpr8
	s_and_saveexec_b64 s[20:21], vcc
	s_xor_b64 s[20:21], exec, s[20:21]
; %bb.858:                              ;   in Loop: Header=BB12_846 Depth=2
	v_bfe_u32 v8, v7, 16, 1
	v_add3_u32 v8, v7, v8, s49
                                        ; implicit-def: $vgpr7
; %bb.859:                              ;   in Loop: Header=BB12_846 Depth=2
	s_andn2_saveexec_b64 s[20:21], s[20:21]
	s_cbranch_execz .LBB12_845
; %bb.860:                              ;   in Loop: Header=BB12_846 Depth=2
	v_or_b32_e32 v8, 0x10000, v7
	v_cmp_eq_u32_sdwa vcc, v7, v30 src0_sel:WORD_0 src1_sel:DWORD
	v_cndmask_b32_e32 v8, v8, v7, vcc
	s_branch .LBB12_845
.LBB12_861:                             ;   in Loop: Header=BB12_49 Depth=1
	s_or_b64 exec, exec, s[60:61]
	s_and_b64 exec, exec, s[62:63]
	s_cbranch_execz .LBB12_867
; %bb.862:                              ;   in Loop: Header=BB12_49 Depth=1
	buffer_load_ushort v2, off, s[0:3], s33 offset:62
	buffer_load_ushort v3, off, s[0:3], s33 offset:60
	s_waitcnt vmcnt(0)
	v_lshlrev_b32_e32 v2, 16, v2
	v_lshlrev_b32_e32 v3, 16, v3
	v_add_f32_e32 v2, v3, v2
	v_and_b32_e32 v3, 0x7f800000, v2
	v_cmp_ne_u32_e32 vcc, s48, v3
                                        ; implicit-def: $vgpr3
	s_and_saveexec_b64 s[20:21], vcc
	s_xor_b64 s[20:21], exec, s[20:21]
; %bb.863:                              ;   in Loop: Header=BB12_49 Depth=1
	v_bfe_u32 v3, v2, 16, 1
	v_add3_u32 v3, v2, v3, s49
                                        ; implicit-def: $vgpr2
; %bb.864:                              ;   in Loop: Header=BB12_49 Depth=1
	s_andn2_saveexec_b64 s[20:21], s[20:21]
; %bb.865:                              ;   in Loop: Header=BB12_49 Depth=1
	v_or_b32_e32 v3, 0x10000, v2
	v_cmp_eq_u32_sdwa vcc, v2, v30 src0_sel:WORD_0 src1_sel:DWORD
	v_cndmask_b32_e32 v3, v3, v2, vcc
; %bb.866:                              ;   in Loop: Header=BB12_49 Depth=1
	s_or_b64 exec, exec, s[20:21]
	flat_store_short_d16_hi v[0:1], v3 glc slc
.LBB12_867:                             ;   in Loop: Header=BB12_49 Depth=1
	s_or_b64 exec, exec, s[22:23]
	s_waitcnt vmcnt(0)
	v_cmp_ne_u32_e64 s[20:21], 0, v27
	s_and_saveexec_b64 s[22:23], s[10:11]
	s_cbranch_execz .LBB12_886
.LBB12_868:                             ;   in Loop: Header=BB12_49 Depth=1
	s_and_saveexec_b64 s[60:61], s[42:43]
	s_xor_b64 s[60:61], exec, s[60:61]
	s_cbranch_execz .LBB12_883
; %bb.869:                              ;   in Loop: Header=BB12_49 Depth=1
	s_and_saveexec_b64 s[62:63], s[12:13]
	s_cbranch_execz .LBB12_882
; %bb.870:                              ;   in Loop: Header=BB12_49 Depth=1
	s_mov_b64 s[74:75], exec
	v_mbcnt_lo_u32_b32 v0, s74, 0
	v_mbcnt_hi_u32_b32 v0, s75, v0
	v_cmp_eq_u32_e32 vcc, 0, v0
	s_waitcnt vmcnt(0) lgkmcnt(0)
	buffer_wbinvl1_vol
	s_and_saveexec_b64 s[72:73], vcc
	s_cbranch_execz .LBB12_872
; %bb.871:                              ;   in Loop: Header=BB12_49 Depth=1
	s_bcnt1_i32_b64 s74, s[74:75]
	v_mov_b32_e32 v0, s74
	v_mov_b32_e32 v1, v30
	ds_add_u64 v0, v[0:1]
	s_trap 2
.LBB12_872:                             ;   in Loop: Header=BB12_49 Depth=1
	s_or_b64 exec, exec, s[72:73]
	s_trap 2
	ds_read_b64 v[0:1], v0
	s_waitcnt lgkmcnt(0)
	buffer_load_dword v2, off, s[0:3], s33 offset:160 ; 4-byte Folded Reload
	buffer_load_dword v3, off, s[0:3], s33 offset:164 ; 4-byte Folded Reload
	;; [unrolled: 1-line block ×3, first 2 shown]
	s_waitcnt vmcnt(0)
	v_add_co_u32_e32 v2, vcc, v2, v4
	v_addc_co_u32_e32 v3, vcc, 0, v3, vcc
	buffer_store_dword v2, off, s[0:3], s33 offset:160 ; 4-byte Folded Spill
	s_nop 0
	buffer_store_dword v3, off, s[0:3], s33 offset:164 ; 4-byte Folded Spill
	v_cmp_lt_u64_e32 vcc, v[0:1], v[2:3]
	s_and_saveexec_b64 s[72:73], vcc
	s_cbranch_execz .LBB12_881
; %bb.873:                              ;   in Loop: Header=BB12_49 Depth=1
	s_mov_b32 s94, 0
	s_mov_b64 s[74:75], 0
                                        ; implicit-def: $sgpr76_sgpr77
                                        ; implicit-def: $sgpr78_sgpr79
	s_branch .LBB12_875
.LBB12_874:                             ;   in Loop: Header=BB12_875 Depth=2
	s_or_b64 exec, exec, s[90:91]
	s_and_b64 s[88:89], exec, s[92:93]
	s_or_b64 s[74:75], s[88:89], s[74:75]
	s_andn2_b64 s[76:77], s[76:77], exec
	s_and_b64 s[88:89], s[78:79], exec
	s_or_b64 s[76:77], s[76:77], s[88:89]
	s_andn2_b64 exec, exec, s[74:75]
	s_cbranch_execz .LBB12_879
.LBB12_875:                             ;   Parent Loop BB12_49 Depth=1
                                        ; =>  This Inner Loop Header: Depth=2
	s_add_i32 s94, s94, 1
	s_cmpk_lg_i32 s94, 0x2710
	s_cselect_b64 s[88:89], -1, 0
	s_and_b64 vcc, exec, s[88:89]
	s_cbranch_vccz .LBB12_877
; %bb.876:                              ;   in Loop: Header=BB12_875 Depth=2
	s_mov_b64 s[92:93], -1
	s_or_b64 s[78:79], s[78:79], exec
	s_and_saveexec_b64 s[90:91], s[88:89]
	s_cbranch_execz .LBB12_874
	s_branch .LBB12_878
.LBB12_877:                             ;   in Loop: Header=BB12_875 Depth=2
	s_trap 2
	ds_read_b64 v[0:1], v0
	s_andn2_b64 s[88:89], s[88:89], exec
	s_mov_b32 s94, 0
	s_waitcnt vmcnt(0) lgkmcnt(0)
	flat_load_dword v0, v[0:1] glc
	s_waitcnt vmcnt(0) lgkmcnt(0)
	buffer_wbinvl1_vol
	v_cmp_eq_u32_e32 vcc, 0, v0
	s_and_b64 s[90:91], vcc, exec
	s_or_b64 s[88:89], s[88:89], s[90:91]
	s_mov_b64 s[92:93], -1
	s_or_b64 s[78:79], s[78:79], exec
	s_and_saveexec_b64 s[90:91], s[88:89]
	s_cbranch_execz .LBB12_874
.LBB12_878:                             ;   in Loop: Header=BB12_875 Depth=2
	s_sleep 1
	s_trap 2
	ds_read_b64 v[0:1], v0
	s_waitcnt lgkmcnt(0)
	buffer_load_dword v2, off, s[0:3], s33 offset:160 ; 4-byte Folded Reload
	buffer_load_dword v3, off, s[0:3], s33 offset:164 ; 4-byte Folded Reload
	s_andn2_b64 s[78:79], s[78:79], exec
	s_waitcnt vmcnt(0)
	v_cmp_ge_u64_e32 vcc, v[0:1], v[2:3]
	s_orn2_b64 s[92:93], vcc, exec
	s_branch .LBB12_874
.LBB12_879:                             ;   in Loop: Header=BB12_49 Depth=1
	s_or_b64 exec, exec, s[74:75]
	s_and_saveexec_b64 s[74:75], s[76:77]
	s_xor_b64 s[74:75], exec, s[74:75]
	s_cbranch_execz .LBB12_881
; %bb.880:                              ;   in Loop: Header=BB12_49 Depth=1
	ds_write_b32 v0, v51
	s_trap 2
.LBB12_881:                             ;   in Loop: Header=BB12_49 Depth=1
	s_or_b64 exec, exec, s[72:73]
	;;#ASMSTART
	s_wakeup
	;;#ASMEND
.LBB12_882:                             ;   in Loop: Header=BB12_49 Depth=1
	s_or_b64 exec, exec, s[62:63]
.LBB12_883:                             ;   in Loop: Header=BB12_49 Depth=1
	s_andn2_saveexec_b64 s[60:61], s[60:61]
	s_cbranch_execz .LBB12_885
; %bb.884:                              ;   in Loop: Header=BB12_49 Depth=1
	s_waitcnt vmcnt(0) lgkmcnt(0)
	buffer_wbinvl1_vol
	s_barrier
.LBB12_885:                             ;   in Loop: Header=BB12_49 Depth=1
	s_or_b64 exec, exec, s[60:61]
.LBB12_886:                             ;   in Loop: Header=BB12_49 Depth=1
	s_or_b64 exec, exec, s[22:23]
	v_and_b32_e32 v0, 16, v53
	v_cmp_ne_u32_e32 vcc, 0, v0
	s_and_b64 s[22:23], vcc, s[20:21]
	s_and_saveexec_b64 s[20:21], s[22:23]
	s_cbranch_execz .LBB12_888
; %bb.887:                              ;   in Loop: Header=BB12_49 Depth=1
	s_waitcnt vmcnt(0) lgkmcnt(0)
	buffer_wbinvl1_vol
.LBB12_888:                             ;   in Loop: Header=BB12_49 Depth=1
	s_or_b64 exec, exec, s[20:21]
	v_cmp_ne_u32_e32 vcc, 0, v0
	s_xor_b64 s[20:21], s[18:19], -1
	s_and_b64 s[22:23], vcc, s[20:21]
	s_and_saveexec_b64 s[20:21], s[22:23]
	s_cbranch_execz .LBB12_890
; %bb.889:                              ;   in Loop: Header=BB12_49 Depth=1
	buffer_load_dword v0, off, s[0:3], s33 offset:416 ; 4-byte Folded Reload
	buffer_load_dword v1, off, s[0:3], s33 offset:420 ; 4-byte Folded Reload
	s_waitcnt vmcnt(0)
	flat_store_dword v[0:1], v51
.LBB12_890:                             ;   in Loop: Header=BB12_49 Depth=1
	s_or_b64 exec, exec, s[20:21]
	v_and_b32_e32 v0, 48, v53
	v_cmp_ne_u32_e32 vcc, 0, v0
	s_and_saveexec_b64 s[20:21], vcc
	s_cbranch_execz .LBB12_892
; %bb.891:                              ;   in Loop: Header=BB12_49 Depth=1
	buffer_load_dword v0, off, s[0:3], s33 offset:144 ; 4-byte Folded Reload
	buffer_load_dword v1, off, s[0:3], s33 offset:148 ; 4-byte Folded Reload
	;; [unrolled: 1-line block ×4, first 2 shown]
	s_waitcnt vmcnt(0)
	v_add_co_u32_e32 v2, vcc, 1, v2
	v_addc_co_u32_e32 v3, vcc, 0, v3, vcc
	buffer_store_dword v0, off, s[0:3], s33 offset:144 ; 4-byte Folded Spill
	s_nop 0
	buffer_store_dword v1, off, s[0:3], s33 offset:148 ; 4-byte Folded Spill
	buffer_store_dword v2, off, s[0:3], s33 offset:152 ; 4-byte Folded Spill
	;; [unrolled: 1-line block ×3, first 2 shown]
	buffer_load_dword v0, off, s[0:3], s33 offset:136 ; 4-byte Folded Reload
	s_nop 0
	buffer_load_dword v1, off, s[0:3], s33 offset:140 ; 4-byte Folded Reload
	s_waitcnt vmcnt(0)
	flat_store_dwordx2 v[0:1], v[2:3]
.LBB12_892:                             ;   in Loop: Header=BB12_49 Depth=1
	s_or_b64 exec, exec, s[20:21]
	v_mov_b32_e32 v0, v55
.LBB12_893:                             ;   in Loop: Header=BB12_49 Depth=1
	s_or_b64 exec, exec, s[58:59]
	s_and_saveexec_b64 s[22:23], s[56:57]
	s_cbranch_execz .LBB12_48
; %bb.894:                              ;   in Loop: Header=BB12_49 Depth=1
	v_sub_u32_e32 v0, v41, v0
	v_and_b32_e32 v1, 12, v53
	v_min_i32_e32 v0, v55, v0
	v_cmp_ne_u32_e32 vcc, 0, v1
	s_and_saveexec_b64 s[56:57], vcc
	s_cbranch_execz .LBB12_920
; %bb.895:                              ;   in Loop: Header=BB12_49 Depth=1
	buffer_load_dword v1, off, s[0:3], s33 offset:128 ; 4-byte Folded Reload
	buffer_load_dword v2, off, s[0:3], s33 offset:132 ; 4-byte Folded Reload
	;; [unrolled: 1-line block ×6, first 2 shown]
	v_and_b32_e32 v10, 8, v53
	s_waitcnt vmcnt(0)
	v_add_co_u32_e32 v4, vcc, v1, v10
	v_addc_co_u32_e32 v5, vcc, 0, v2, vcc
	v_add_co_u32_e32 v2, vcc, 1, v8
	v_addc_co_u32_e32 v3, vcc, 0, v9, vcc
	v_cmp_lt_u64_e32 vcc, v[4:5], v[2:3]
	s_and_saveexec_b64 s[58:59], vcc
	s_cbranch_execz .LBB12_907
; %bb.896:                              ;   in Loop: Header=BB12_49 Depth=1
	v_and_b32_e32 v1, 64, v53
	s_mov_b32 s94, 0
	v_cmp_eq_u32_e32 vcc, 0, v1
	s_mov_b64 s[60:61], 0
                                        ; implicit-def: $sgpr62_sgpr63
                                        ; implicit-def: $sgpr72_sgpr73
                                        ; implicit-def: $sgpr74_sgpr75
	s_branch .LBB12_900
.LBB12_897:                             ;   in Loop: Header=BB12_900 Depth=2
	buffer_load_dword v4, off, s[0:3], s33 offset:128 ; 4-byte Folded Reload
	buffer_load_dword v5, off, s[0:3], s33 offset:132 ; 4-byte Folded Reload
	s_or_b64 s[88:89], s[88:89], exec
	s_waitcnt vmcnt(1)
	v_add_co_u32_e64 v4, s[20:21], v4, v10
	s_waitcnt vmcnt(0)
	v_addc_co_u32_e64 v5, s[20:21], 0, v5, s[20:21]
	v_cmp_ge_u64_e64 s[20:21], v[4:5], v[2:3]
	s_orn2_b64 s[78:79], s[20:21], exec
.LBB12_898:                             ;   in Loop: Header=BB12_900 Depth=2
	s_or_b64 exec, exec, s[92:93]
	s_andn2_b64 s[20:21], s[74:75], exec
	s_and_b64 s[74:75], s[88:89], exec
	s_or_b64 s[74:75], s[20:21], s[74:75]
	s_andn2_b64 s[20:21], s[72:73], exec
	s_and_b64 s[72:73], s[78:79], exec
	s_or_b64 s[72:73], s[20:21], s[72:73]
.LBB12_899:                             ;   in Loop: Header=BB12_900 Depth=2
	s_or_b64 exec, exec, s[76:77]
	s_and_b64 s[20:21], exec, s[72:73]
	s_or_b64 s[60:61], s[20:21], s[60:61]
	s_andn2_b64 s[20:21], s[62:63], exec
	s_and_b64 s[62:63], s[74:75], exec
	s_or_b64 s[62:63], s[20:21], s[62:63]
	s_andn2_b64 exec, exec, s[60:61]
	s_cbranch_execz .LBB12_904
.LBB12_900:                             ;   Parent Loop BB12_49 Depth=1
                                        ; =>  This Inner Loop Header: Depth=2
	s_sleep 1
	buffer_load_dword v4, off, s[0:3], s33 offset:136 ; 4-byte Folded Reload
	buffer_load_dword v5, off, s[0:3], s33 offset:140 ; 4-byte Folded Reload
	s_or_b64 s[74:75], s[74:75], exec
	s_or_b64 s[72:73], s[72:73], exec
                                        ; implicit-def: $vgpr1
	s_waitcnt vmcnt(0)
	flat_load_dwordx2 v[4:5], v[4:5] glc
	s_waitcnt vmcnt(0) lgkmcnt(0)
	buffer_store_dword v4, off, s[0:3], s33 offset:128 ; 4-byte Folded Spill
	s_nop 0
	buffer_store_dword v5, off, s[0:3], s33 offset:132 ; 4-byte Folded Spill
	s_and_saveexec_b64 s[76:77], vcc
	s_cbranch_execz .LBB12_899
; %bb.901:                              ;   in Loop: Header=BB12_900 Depth=2
	s_cmpk_lt_i32 s94, 0x270f
	s_cselect_b64 s[90:91], -1, 0
	s_cmpk_gt_i32 s94, 0x270e
	s_mov_b64 s[78:79], -1
	s_cbranch_scc0 .LBB12_903
; %bb.902:                              ;   in Loop: Header=BB12_900 Depth=2
	s_trap 2
	ds_read_b64 v[4:5], v0
	s_andn2_b64 s[90:91], s[90:91], exec
	s_mov_b32 s94, 0
	s_mov_b64 s[88:89], 0
	s_waitcnt vmcnt(0) lgkmcnt(0)
	flat_load_dword v1, v[4:5] glc
	s_waitcnt vmcnt(0) lgkmcnt(0)
	buffer_wbinvl1_vol
	v_cmp_eq_u32_e64 s[20:21], 0, v1
	s_and_b64 s[20:21], s[20:21], exec
	s_or_b64 s[90:91], s[90:91], s[20:21]
	s_and_saveexec_b64 s[92:93], s[90:91]
	s_cbranch_execz .LBB12_898
	s_branch .LBB12_897
.LBB12_903:                             ;   in Loop: Header=BB12_900 Depth=2
	s_add_i32 s94, s94, 1
	s_mov_b64 s[88:89], -1
                                        ; implicit-def: $vgpr1
	s_and_saveexec_b64 s[92:93], s[90:91]
	s_cbranch_execz .LBB12_898
	s_branch .LBB12_897
.LBB12_904:                             ;   in Loop: Header=BB12_49 Depth=1
	s_or_b64 exec, exec, s[60:61]
	s_xor_b64 s[20:21], s[62:63], -1
	s_and_saveexec_b64 s[60:61], s[20:21]
	s_xor_b64 s[20:21], exec, s[60:61]
	s_cbranch_execz .LBB12_906
; %bb.905:                              ;   in Loop: Header=BB12_49 Depth=1
	v_or_b32_e32 v53, 64, v53
	ds_write_b32 v0, v1
	s_trap 2
.LBB12_906:                             ;   in Loop: Header=BB12_49 Depth=1
	s_or_b64 exec, exec, s[20:21]
.LBB12_907:                             ;   in Loop: Header=BB12_49 Depth=1
	s_or_b64 exec, exec, s[58:59]
	v_and_b32_e32 v1, 0x108, v53
	v_cmp_ne_u32_e32 vcc, s39, v1
	;;#ASMSTART
	s_wakeup
	;;#ASMEND
                                        ; implicit-def: $vgpr4_vgpr5
	s_and_saveexec_b64 s[20:21], vcc
	s_xor_b64 s[20:21], exec, s[20:21]
	s_cbranch_execz .LBB12_909
; %bb.908:                              ;   in Loop: Header=BB12_49 Depth=1
	buffer_load_dword v4, off, s[0:3], s33 offset:144 ; 4-byte Folded Reload
	buffer_load_dword v5, off, s[0:3], s33 offset:148 ; 4-byte Folded Reload
	;; [unrolled: 1-line block ×4, first 2 shown]
	s_waitcnt vmcnt(0)
	v_mov_b32_e32 v5, v30
	v_and_b32_e32 v4, 7, v6
.LBB12_909:                             ;   in Loop: Header=BB12_49 Depth=1
	s_andn2_saveexec_b64 s[20:21], s[20:21]
	s_cbranch_execz .LBB12_911
; %bb.910:                              ;   in Loop: Header=BB12_49 Depth=1
	buffer_load_dword v4, off, s[0:3], s33 offset:144 ; 4-byte Folded Reload
	buffer_load_dword v5, off, s[0:3], s33 offset:148 ; 4-byte Folded Reload
	;; [unrolled: 1-line block ×4, first 2 shown]
	v_ashrrev_i32_e32 v1, 31, v0
	v_lshlrev_b64 v[8:9], 1, v[0:1]
	s_waitcnt vmcnt(0)
	v_mov_b32_e32 v7, v6
	v_mov_b32_e32 v6, v5
	v_mov_b32_e32 v5, v4
	v_and_b32_e32 v4, 7, v7
	v_mad_u64_u32 v[6:7], s[58:59], v4, 24, v[5:6]
	v_mov_b32_e32 v5, v30
	flat_store_dwordx2 v[6:7], v[8:9] offset:8
.LBB12_911:                             ;   in Loop: Header=BB12_49 Depth=1
	s_or_b64 exec, exec, s[20:21]
	v_and_b32_e32 v1, 0x100, v53
	v_cmp_ne_u32_e32 vcc, 0, v1
	s_mov_b64 s[20:21], -1
                                        ; implicit-def: $vgpr6_vgpr7
	s_and_saveexec_b64 s[58:59], vcc
	s_cbranch_execz .LBB12_915
; %bb.912:                              ;   in Loop: Header=BB12_49 Depth=1
	buffer_load_dword v6, off, s[0:3], s33 offset:144 ; 4-byte Folded Reload
	buffer_load_dword v7, off, s[0:3], s33 offset:148 ; 4-byte Folded Reload
	;; [unrolled: 1-line block ×4, first 2 shown]
	s_waitcnt vmcnt(0)
	v_mad_u64_u32 v[8:9], s[20:21], v4, 24, v[6:7]
	v_mov_b32_e32 v1, v9
	v_mad_u64_u32 v[6:7], s[20:21], v5, 24, v[1:2]
	v_mov_b32_e32 v9, v6
	flat_load_dword v1, v[8:9]
                                        ; implicit-def: $vgpr6_vgpr7
	s_waitcnt vmcnt(0) lgkmcnt(0)
	v_cmp_ne_u32_e32 vcc, 1, v1
	v_cmp_eq_u32_e64 s[20:21], 1, v1
	s_and_saveexec_b64 s[60:61], s[20:21]
	s_cbranch_execz .LBB12_914
; %bb.913:                              ;   in Loop: Header=BB12_49 Depth=1
	flat_load_dword v6, v[8:9] offset:4 glc
	s_waitcnt vmcnt(0) lgkmcnt(0)
	v_ashrrev_i32_e32 v7, 31, v6
	v_lshrrev_b64 v[6:7], 1, v[6:7]
.LBB12_914:                             ;   in Loop: Header=BB12_49 Depth=1
	s_or_b64 exec, exec, s[60:61]
	s_orn2_b64 s[20:21], vcc, exec
.LBB12_915:                             ;   in Loop: Header=BB12_49 Depth=1
	s_or_b64 exec, exec, s[58:59]
	s_and_saveexec_b64 s[58:59], s[20:21]
	s_cbranch_execz .LBB12_917
; %bb.916:                              ;   in Loop: Header=BB12_49 Depth=1
	buffer_load_dword v6, off, s[0:3], s33 offset:412 ; 4-byte Folded Reload
	s_waitcnt vmcnt(0)
	v_mul_lo_u32 v1, v5, v6
	v_mul_lo_u32 v5, v4, v50
	v_mad_u64_u32 v[6:7], s[20:21], v4, v6, 0
	v_add3_u32 v7, v7, v5, v1
.LBB12_917:                             ;   in Loop: Header=BB12_49 Depth=1
	s_or_b64 exec, exec, s[58:59]
	v_lshlrev_b64 v[4:5], 1, v[6:7]
	buffer_load_dword v6, off, s[0:3], s33 offset:320 ; 4-byte Folded Reload
	buffer_load_dword v7, off, s[0:3], s33 offset:324 ; 4-byte Folded Reload
	v_cmp_eq_u32_e32 vcc, 0, v10
	v_cndmask_b32_e32 v1, v52, v54, vcc
	v_add_u32_e32 v1, v0, v1
	s_waitcnt vmcnt(0)
	v_add_co_u32_e32 v4, vcc, v6, v4
	v_addc_co_u32_e32 v5, vcc, v7, v5, vcc
	ds_write_b64 v1, v[4:5] offset:584
	v_and_b32_e32 v1, 0x2000, v53
	v_cmp_ne_u32_e32 vcc, 0, v1
	s_and_saveexec_b64 s[20:21], vcc
	s_cbranch_execz .LBB12_919
; %bb.918:                              ;   in Loop: Header=BB12_49 Depth=1
	ds_read_b64 v[4:5], v0 offset:872
	s_waitcnt lgkmcnt(0)
	v_add_co_u32_e32 v4, vcc, 1, v4
	v_addc_co_u32_e32 v5, vcc, 0, v5, vcc
	ds_write_b64 v0, v[4:5] offset:872
.LBB12_919:                             ;   in Loop: Header=BB12_49 Depth=1
	s_or_b64 exec, exec, s[20:21]
	buffer_load_dword v4, off, s[0:3], s33 offset:144 ; 4-byte Folded Reload
	buffer_load_dword v5, off, s[0:3], s33 offset:148 ; 4-byte Folded Reload
	;; [unrolled: 1-line block ×4, first 2 shown]
	s_waitcnt vmcnt(0)
	v_mov_b32_e32 v7, v3
	v_mov_b32_e32 v6, v2
	buffer_store_dword v4, off, s[0:3], s33 offset:144 ; 4-byte Folded Spill
	s_nop 0
	buffer_store_dword v5, off, s[0:3], s33 offset:148 ; 4-byte Folded Spill
	buffer_store_dword v6, off, s[0:3], s33 offset:152 ; 4-byte Folded Spill
	;; [unrolled: 1-line block ×3, first 2 shown]
.LBB12_920:                             ;   in Loop: Header=BB12_49 Depth=1
	s_or_b64 exec, exec, s[56:57]
	s_and_saveexec_b64 s[20:21], s[10:11]
	s_cbranch_execz .LBB12_939
; %bb.921:                              ;   in Loop: Header=BB12_49 Depth=1
	s_and_saveexec_b64 s[56:57], s[42:43]
	s_xor_b64 s[56:57], exec, s[56:57]
	s_cbranch_execz .LBB12_936
; %bb.922:                              ;   in Loop: Header=BB12_49 Depth=1
	s_and_saveexec_b64 s[58:59], s[12:13]
	s_cbranch_execz .LBB12_935
; %bb.923:                              ;   in Loop: Header=BB12_49 Depth=1
	s_mov_b64 s[62:63], exec
	v_mbcnt_lo_u32_b32 v1, s62, 0
	v_mbcnt_hi_u32_b32 v1, s63, v1
	v_cmp_eq_u32_e32 vcc, 0, v1
	s_waitcnt vmcnt(0) lgkmcnt(0)
	buffer_wbinvl1_vol
	s_and_saveexec_b64 s[60:61], vcc
	s_cbranch_execz .LBB12_925
; %bb.924:                              ;   in Loop: Header=BB12_49 Depth=1
	s_bcnt1_i32_b64 s62, s[62:63]
	v_mov_b32_e32 v1, s62
	v_mov_b32_e32 v2, v30
	ds_add_u64 v0, v[1:2]
	s_trap 2
.LBB12_925:                             ;   in Loop: Header=BB12_49 Depth=1
	s_or_b64 exec, exec, s[60:61]
	s_trap 2
	ds_read_b64 v[1:2], v0
	s_waitcnt lgkmcnt(0)
	buffer_load_dword v3, off, s[0:3], s33 offset:160 ; 4-byte Folded Reload
	buffer_load_dword v4, off, s[0:3], s33 offset:164 ; 4-byte Folded Reload
	;; [unrolled: 1-line block ×3, first 2 shown]
	s_waitcnt vmcnt(0)
	v_add_co_u32_e32 v3, vcc, v3, v5
	v_addc_co_u32_e32 v4, vcc, 0, v4, vcc
	buffer_store_dword v3, off, s[0:3], s33 offset:160 ; 4-byte Folded Spill
	s_nop 0
	buffer_store_dword v4, off, s[0:3], s33 offset:164 ; 4-byte Folded Spill
	v_cmp_lt_u64_e32 vcc, v[1:2], v[3:4]
	s_and_saveexec_b64 s[60:61], vcc
	s_cbranch_execz .LBB12_934
; %bb.926:                              ;   in Loop: Header=BB12_49 Depth=1
	s_mov_b32 s90, 0
	s_mov_b64 s[62:63], 0
                                        ; implicit-def: $sgpr72_sgpr73
                                        ; implicit-def: $sgpr74_sgpr75
	s_branch .LBB12_928
.LBB12_927:                             ;   in Loop: Header=BB12_928 Depth=2
	s_or_b64 exec, exec, s[78:79]
	s_and_b64 s[76:77], exec, s[88:89]
	s_or_b64 s[62:63], s[76:77], s[62:63]
	s_andn2_b64 s[72:73], s[72:73], exec
	s_and_b64 s[76:77], s[74:75], exec
	s_or_b64 s[72:73], s[72:73], s[76:77]
	s_andn2_b64 exec, exec, s[62:63]
	s_cbranch_execz .LBB12_932
.LBB12_928:                             ;   Parent Loop BB12_49 Depth=1
                                        ; =>  This Inner Loop Header: Depth=2
	s_add_i32 s90, s90, 1
	s_cmpk_lg_i32 s90, 0x2710
	s_cselect_b64 s[76:77], -1, 0
	s_and_b64 vcc, exec, s[76:77]
	s_cbranch_vccz .LBB12_930
; %bb.929:                              ;   in Loop: Header=BB12_928 Depth=2
	s_mov_b64 s[88:89], -1
	s_or_b64 s[74:75], s[74:75], exec
	s_and_saveexec_b64 s[78:79], s[76:77]
	s_cbranch_execz .LBB12_927
	s_branch .LBB12_931
.LBB12_930:                             ;   in Loop: Header=BB12_928 Depth=2
	s_trap 2
	ds_read_b64 v[1:2], v0
	s_andn2_b64 s[76:77], s[76:77], exec
	s_mov_b32 s90, 0
	s_waitcnt vmcnt(0) lgkmcnt(0)
	flat_load_dword v1, v[1:2] glc
	s_waitcnt vmcnt(0) lgkmcnt(0)
	buffer_wbinvl1_vol
	v_cmp_eq_u32_e32 vcc, 0, v1
	s_and_b64 s[78:79], vcc, exec
	s_or_b64 s[76:77], s[76:77], s[78:79]
	s_mov_b64 s[88:89], -1
	s_or_b64 s[74:75], s[74:75], exec
	s_and_saveexec_b64 s[78:79], s[76:77]
	s_cbranch_execz .LBB12_927
.LBB12_931:                             ;   in Loop: Header=BB12_928 Depth=2
	s_sleep 1
	s_trap 2
	ds_read_b64 v[1:2], v0
	s_waitcnt lgkmcnt(0)
	buffer_load_dword v3, off, s[0:3], s33 offset:160 ; 4-byte Folded Reload
	buffer_load_dword v4, off, s[0:3], s33 offset:164 ; 4-byte Folded Reload
	s_andn2_b64 s[74:75], s[74:75], exec
	s_waitcnt vmcnt(0)
	v_cmp_ge_u64_e32 vcc, v[1:2], v[3:4]
	s_orn2_b64 s[88:89], vcc, exec
	s_branch .LBB12_927
.LBB12_932:                             ;   in Loop: Header=BB12_49 Depth=1
	s_or_b64 exec, exec, s[62:63]
	s_and_saveexec_b64 s[62:63], s[72:73]
	s_xor_b64 s[62:63], exec, s[62:63]
	s_cbranch_execz .LBB12_934
; %bb.933:                              ;   in Loop: Header=BB12_49 Depth=1
	ds_write_b32 v0, v51
	s_trap 2
.LBB12_934:                             ;   in Loop: Header=BB12_49 Depth=1
	s_or_b64 exec, exec, s[60:61]
	;;#ASMSTART
	s_wakeup
	;;#ASMEND
.LBB12_935:                             ;   in Loop: Header=BB12_49 Depth=1
	s_or_b64 exec, exec, s[58:59]
.LBB12_936:                             ;   in Loop: Header=BB12_49 Depth=1
	s_andn2_saveexec_b64 s[56:57], s[56:57]
	s_cbranch_execz .LBB12_938
; %bb.937:                              ;   in Loop: Header=BB12_49 Depth=1
	s_waitcnt vmcnt(0) lgkmcnt(0)
	buffer_wbinvl1_vol
	s_barrier
.LBB12_938:                             ;   in Loop: Header=BB12_49 Depth=1
	s_or_b64 exec, exec, s[56:57]
.LBB12_939:                             ;   in Loop: Header=BB12_49 Depth=1
	s_or_b64 exec, exec, s[20:21]
	s_trap 2
	ds_read_b32 v1, v0
	v_cmp_lt_i32_e32 vcc, 0, v0
	v_and_b32_e32 v0, 16, v53
	s_waitcnt lgkmcnt(0)
	v_readfirstlane_b32 s20, v1
	s_cmp_eq_u32 s20, 0
	s_cselect_b64 s[20:21], -1, 0
	s_and_b64 s[20:21], vcc, s[20:21]
	v_cmp_ne_u32_e32 vcc, 0, v0
	s_and_b64 s[56:57], vcc, s[20:21]
	s_and_saveexec_b64 s[20:21], s[56:57]
	s_cbranch_execz .LBB12_941
; %bb.940:                              ;   in Loop: Header=BB12_49 Depth=1
	s_waitcnt vmcnt(0)
	buffer_wbinvl1_vol
.LBB12_941:                             ;   in Loop: Header=BB12_49 Depth=1
	s_or_b64 exec, exec, s[20:21]
	v_cmp_ne_u32_e32 vcc, 0, v0
	s_xor_b64 s[20:21], s[18:19], -1
	s_and_b64 s[56:57], vcc, s[20:21]
	s_and_saveexec_b64 s[20:21], s[56:57]
	s_cbranch_execz .LBB12_943
; %bb.942:                              ;   in Loop: Header=BB12_49 Depth=1
	buffer_load_dword v0, off, s[0:3], s33 offset:416 ; 4-byte Folded Reload
	buffer_load_dword v1, off, s[0:3], s33 offset:420 ; 4-byte Folded Reload
	s_waitcnt vmcnt(0)
	flat_store_dword v[0:1], v51
.LBB12_943:                             ;   in Loop: Header=BB12_49 Depth=1
	s_or_b64 exec, exec, s[20:21]
	v_and_b32_e32 v0, 48, v53
	v_cmp_ne_u32_e32 vcc, 0, v0
	s_and_saveexec_b64 s[20:21], vcc
	s_cbranch_execz .LBB12_47
; %bb.944:                              ;   in Loop: Header=BB12_49 Depth=1
	buffer_load_dword v0, off, s[0:3], s33 offset:144 ; 4-byte Folded Reload
	buffer_load_dword v1, off, s[0:3], s33 offset:148 ; 4-byte Folded Reload
	;; [unrolled: 1-line block ×4, first 2 shown]
	s_waitcnt vmcnt(0)
	v_add_co_u32_e32 v2, vcc, 1, v2
	v_addc_co_u32_e32 v3, vcc, 0, v3, vcc
	buffer_store_dword v0, off, s[0:3], s33 offset:144 ; 4-byte Folded Spill
	s_nop 0
	buffer_store_dword v1, off, s[0:3], s33 offset:148 ; 4-byte Folded Spill
	buffer_store_dword v2, off, s[0:3], s33 offset:152 ; 4-byte Folded Spill
	;; [unrolled: 1-line block ×3, first 2 shown]
	buffer_load_dword v0, off, s[0:3], s33 offset:136 ; 4-byte Folded Reload
	s_nop 0
	buffer_load_dword v1, off, s[0:3], s33 offset:140 ; 4-byte Folded Reload
	s_waitcnt vmcnt(0)
	flat_store_dwordx2 v[0:1], v[2:3]
	s_branch .LBB12_47
.LBB12_945:
	s_or_b64 exec, exec, s[44:45]
.LBB12_946:
	s_or_b64 exec, exec, s[40:41]
                                        ; implicit-def: $vgpr0_vgpr1
                                        ; kill: killed $vgpr0_vgpr1
                                        ; implicit-def: $vgpr0_vgpr1
	buffer_store_dword v0, off, s[0:3], s33 offset:264 ; 4-byte Folded Spill
	s_nop 0
	buffer_store_dword v1, off, s[0:3], s33 offset:268 ; 4-byte Folded Spill
	buffer_store_dword v2, off, s[0:3], s33 offset:272 ; 4-byte Folded Spill
	s_waitcnt vmcnt(0)
	buffer_store_dword v3, off, s[0:3], s33 offset:276 ; 4-byte Folded Spill
                                        ; implicit-def: $vgpr0
                                        ; kill: killed $vgpr0
                                        ; implicit-def: $vgpr0_vgpr1
                                        ; kill: killed $vgpr0_vgpr1
                                        ; implicit-def: $vgpr0_vgpr1
                                        ; kill: killed $vgpr0_vgpr1
	;; [unrolled: 2-line block ×3, first 2 shown]
                                        ; implicit-def: $vgpr0
                                        ; implicit-def: $vgpr14
                                        ; implicit-def: $vgpr1
	buffer_store_dword v1, off, s[0:3], s33 offset:280 ; 4-byte Folded Spill
	s_nop 0
	buffer_store_dword v2, off, s[0:3], s33 offset:284 ; 4-byte Folded Spill
.LBB12_947:
	s_andn2_saveexec_b64 s[22:23], s[28:29]
	s_cbranch_execz .LBB12_1838
; %bb.948:
	v_mov_b32_e32 v1, 0
	v_mov_b32_e32 v2, 0
	buffer_store_dword v1, off, s[0:3], s33 offset:160 ; 4-byte Folded Spill
	s_nop 0
	buffer_store_dword v2, off, s[0:3], s33 offset:164 ; 4-byte Folded Spill
	buffer_load_dword v1, off, s[0:3], s33 offset:264 ; 4-byte Folded Reload
	s_nop 0
	buffer_load_dword v2, off, s[0:3], s33 offset:268 ; 4-byte Folded Reload
	buffer_load_dword v3, off, s[0:3], s33 offset:272 ; 4-byte Folded Reload
	;; [unrolled: 1-line block ×3, first 2 shown]
	s_waitcnt vmcnt(0)
	v_cmp_ne_u64_e32 vcc, 0, v[1:2]
	s_and_saveexec_b64 s[28:29], vcc
	s_cbranch_execz .LBB12_1837
; %bb.949:
	buffer_load_dword v2, off, s[0:3], s33 offset:408 ; 4-byte Folded Reload
	s_trap 2
	buffer_load_dword v1, off, s[0:3], s33 offset:460 ; 4-byte Folded Reload
	s_lshr_b32 s6, s30, 27
	s_add_i32 s6, s30, s6
	s_ashr_i32 s94, s6, 5
	s_movk_i32 s95, 0x1000
	s_movk_i32 s35, 0x400
	;; [unrolled: 1-line block ×3, first 2 shown]
	v_mov_b32_e32 v48, 0
	s_mov_b64 s[42:43], 0
	v_mov_b32_e32 v49, 0
	s_mov_b32 s37, 0x7f800000
	s_movk_i32 s38, 0x7fff
	s_mov_b32 s39, 0xffff0000
	s_waitcnt vmcnt(0)
	v_cmp_ge_i32_e64 s[6:7], v0, v2
	v_cmp_eq_u32_e32 vcc, 64, v2
	v_cmp_ne_u32_e64 s[10:11], 64, v2
	v_cmp_ne_u32_sdwa s[40:41], v2, v1 src0_sel:DWORD src1_sel:WORD_0
	v_lshrrev_b32_e32 v3, 6, v2
	v_ashrrev_i32_e32 v2, 31, v0
	v_lshrrev_b32_e32 v2, 26, v2
	v_add_u32_e32 v2, v0, v2
	v_ashrrev_i32_e32 v50, 6, v2
	v_and_b32_e32 v2, 0xffffffc0, v2
	v_sub_u32_e32 v0, v0, v2
	v_cmp_le_i32_e64 s[14:15], v0, v14
	v_cmp_gt_i32_e64 s[16:17], 1, v0
	buffer_store_dword v0, off, s[0:3], s33 offset:504 ; 4-byte Folded Spill
	v_lshlrev_b32_e32 v0, 4, v0
	v_lshl_add_u32 v0, v50, 12, v0
	buffer_store_dword v0, off, s[0:3], s33 offset:508 ; 4-byte Folded Spill
	v_ashrrev_i32_e32 v0, 31, v0
	buffer_store_dword v0, off, s[0:3], s33 offset:512 ; 4-byte Folded Spill
	v_mov_b32_e32 v0, 0xfffff000
	v_lshl_add_u32 v0, v3, 12, v0
	v_ashrrev_i32_e32 v2, 31, v0
	buffer_store_dword v0, off, s[0:3], s33 offset:416 ; 4-byte Folded Spill
	v_add_co_u32_e64 v0, s[18:19], s95, v0
	buffer_load_dword v1, off, s[0:3], s33 offset:444 ; 4-byte Folded Reload
	s_nop 0
	buffer_store_dword v0, off, s[0:3], s33 offset:304 ; 4-byte Folded Spill
	buffer_store_dword v2, off, s[0:3], s33 offset:424 ; 4-byte Folded Spill
	v_addc_co_u32_e64 v0, s[18:19], 0, v2, s[18:19]
	s_lshr_b32 s18, s33, 6
	v_lshlrev_b32_e32 v40, 10, v3
	s_add_i32 s31, s18, 0x70
	s_lshr_b32 s18, s33, 6
	v_add_u32_e32 v43, 0xfffffc00, v40
	buffer_store_dword v0, off, s[0:3], s33 offset:312 ; 4-byte Folded Spill
	s_add_i32 s34, s18, 0x50
	v_ashrrev_i32_e32 v46, 31, v43
	v_add_co_u32_e64 v47, s[18:19], s35, v43
	v_mov_b32_e32 v0, 0xfffff800
	v_addc_co_u32_e64 v60, s[18:19], 0, v46, s[18:19]
	v_lshl_add_u32 v0, v3, 11, v0
	v_ashrrev_i32_e32 v2, 31, v0
	buffer_store_dword v0, off, s[0:3], s33 offset:360 ; 4-byte Folded Spill
	v_add_co_u32_e64 v0, s[18:19], s36, v0
	buffer_store_dword v0, off, s[0:3], s33 offset:288 ; 4-byte Folded Spill
	buffer_store_dword v2, off, s[0:3], s33 offset:364 ; 4-byte Folded Spill
	v_addc_co_u32_e64 v0, s[18:19], 0, v2, s[18:19]
	v_lshlrev_b32_e32 v61, 7, v3
	buffer_store_dword v0, off, s[0:3], s33 offset:296 ; 4-byte Folded Spill
	buffer_store_dword v3, off, s[0:3], s33 offset:232 ; 4-byte Folded Spill
	v_add_u32_e32 v0, 0xffffff80, v61
	s_movk_i32 s18, 0x80
	buffer_store_dword v0, off, s[0:3], s33 offset:544 ; 4-byte Folded Spill
	v_ashrrev_i32_e32 v2, 31, v0
	v_add_co_u32_e64 v0, s[18:19], s18, v0
	buffer_store_dword v2, off, s[0:3], s33 offset:548 ; 4-byte Folded Spill
	buffer_store_dword v0, off, s[0:3], s33 offset:552 ; 4-byte Folded Spill
	v_addc_co_u32_e64 v0, s[18:19], 0, v2, s[18:19]
	v_mov_b32_e32 v2, 0
	v_mov_b32_e32 v3, 0
	buffer_store_dword v0, off, s[0:3], s33 offset:556 ; 4-byte Folded Spill
	buffer_store_dword v2, off, s[0:3], s33 offset:160 ; 4-byte Folded Spill
	s_nop 0
	buffer_store_dword v3, off, s[0:3], s33 offset:164 ; 4-byte Folded Spill
	buffer_load_dword v2, off, s[0:3], s33 offset:264 ; 4-byte Folded Reload
	s_nop 0
	buffer_load_dword v3, off, s[0:3], s33 offset:268 ; 4-byte Folded Reload
	buffer_load_dword v4, off, s[0:3], s33 offset:272 ; 4-byte Folded Reload
	buffer_load_dword v5, off, s[0:3], s33 offset:276 ; 4-byte Folded Reload
	buffer_load_dword v6, off, s[0:3], s33 offset:280 ; 4-byte Folded Reload
	buffer_load_dword v7, off, s[0:3], s33 offset:284 ; 4-byte Folded Reload
	s_xor_b64 s[44:45], vcc, -1
	buffer_store_dword v50, off, s[0:3], s33 offset:516 ; 4-byte Folded Spill
	buffer_store_dword v40, off, s[0:3], s33 offset:520 ; 4-byte Folded Spill
	buffer_store_dword v43, off, s[0:3], s33 offset:524 ; 4-byte Folded Spill
	buffer_store_dword v46, off, s[0:3], s33 offset:528 ; 4-byte Folded Spill
	buffer_store_dword v47, off, s[0:3], s33 offset:532 ; 4-byte Folded Spill
	buffer_store_dword v60, off, s[0:3], s33 offset:536 ; 4-byte Folded Spill
	buffer_store_dword v61, off, s[0:3], s33 offset:540 ; 4-byte Folded Spill
	s_waitcnt vmcnt(0)
	v_and_b32_e32 v1, 63, v1
	v_cmp_eq_u32_e64 s[12:13], 0, v1
	v_mov_b32_e32 v1, 0
	s_branch .LBB12_952
.LBB12_950:                             ;   in Loop: Header=BB12_952 Depth=1
	s_or_b64 exec, exec, s[18:19]
.LBB12_951:                             ;   in Loop: Header=BB12_952 Depth=1
	s_or_b64 exec, exec, s[20:21]
	buffer_load_dword v6, off, s[0:3], s33 offset:280 ; 4-byte Folded Reload
	buffer_load_dword v7, off, s[0:3], s33 offset:284 ; 4-byte Folded Reload
	;; [unrolled: 1-line block ×6, first 2 shown]
	s_waitcnt vmcnt(0)
	v_add_co_u32_e32 v48, vcc, v48, v6
	v_addc_co_u32_e32 v49, vcc, 0, v49, vcc
	v_cmp_ge_u64_e32 vcc, v[48:49], v[2:3]
	s_or_b64 s[42:43], vcc, s[42:43]
	s_andn2_b64 exec, exec, s[42:43]
	s_cbranch_execz .LBB12_1836
.LBB12_952:                             ; =>This Loop Header: Depth=1
                                        ;     Child Loop BB12_961 Depth 2
                                        ;     Child Loop BB12_985 Depth 2
	;; [unrolled: 1-line block ×5, first 2 shown]
                                        ;       Child Loop BB12_1428 Depth 3
                                        ;       Child Loop BB12_1465 Depth 3
                                        ;     Child Loop BB12_1542 Depth 2
                                        ;     Child Loop BB12_1745 Depth 2
                                        ;       Child Loop BB12_1746 Depth 3
                                        ;       Child Loop BB12_1755 Depth 3
                                        ;     Child Loop BB12_1774 Depth 2
                                        ;     Child Loop BB12_1797 Depth 2
                                        ;     Child Loop BB12_1821 Depth 2
	v_sub_co_u32_e32 v2, vcc, v2, v48
	v_subb_co_u32_e32 v3, vcc, v3, v49, vcc
	v_cmp_lt_u64_e32 vcc, v[6:7], v[2:3]
	v_mov_b32_e32 v8, 0
	v_cndmask_b32_e64 v52, v3, 0, vcc
	v_cndmask_b32_e32 v51, v2, v6, vcc
	v_cmp_eq_u64_e32 vcc, 0, v[51:52]
	v_add_u32_e32 v0, 15, v51
	v_and_b32_e32 v0, 0x3ffffff0, v0
	s_or_b64 s[46:47], s[6:7], vcc
	v_max_i32_e32 v52, s94, v0
	s_xor_b64 s[18:19], s[46:47], -1
	s_and_saveexec_b64 s[56:57], s[18:19]
	s_cbranch_execz .LBB12_1790
; %bb.953:                              ;   in Loop: Header=BB12_952 Depth=1
	s_and_saveexec_b64 s[18:19], s[4:5]
	s_cbranch_execz .LBB12_955
; %bb.954:                              ;   in Loop: Header=BB12_952 Depth=1
	buffer_load_dword v2, off, s[0:3], s33 offset:400 ; 4-byte Folded Reload
	buffer_load_dword v3, off, s[0:3], s33 offset:404 ; 4-byte Folded Reload
	s_trap 2
	s_waitcnt vmcnt(0)
	v_add_co_u32_e32 v6, vcc, v48, v2
	v_addc_co_u32_e32 v7, vcc, v49, v3, vcc
	ds_read2_b64 v[2:5], v0 offset1:1
	v_lshlrev_b64 v[6:7], 1, v[6:7]
	s_waitcnt lgkmcnt(0)
	v_add_co_u32_e32 v2, vcc, v2, v6
	v_addc_co_u32_e32 v3, vcc, v3, v7, vcc
	ds_write_b64 v0, v[2:3]
	v_add_co_u32_e32 v2, vcc, v4, v6
	v_addc_co_u32_e32 v3, vcc, v5, v7, vcc
	ds_write_b64 v0, v[2:3]
	ds_read_b64 v[2:3], v0
	s_waitcnt lgkmcnt(0)
	v_add_co_u32_e32 v0, vcc, v2, v6
	v_addc_co_u32_e32 v4, vcc, v3, v7, vcc
	v_cmp_ne_u64_e32 vcc, 0, v[2:3]
	v_cndmask_b32_e32 v3, 0, v4, vcc
	v_cndmask_b32_e32 v2, 0, v0, vcc
	ds_write_b64 v0, v[2:3]
.LBB12_955:                             ;   in Loop: Header=BB12_952 Depth=1
	s_or_b64 exec, exec, s[18:19]
	v_and_b32_e32 v0, 4, v53
	v_cmp_ne_u32_e32 vcc, 0, v0
	s_and_saveexec_b64 s[20:21], vcc
	s_cbranch_execz .LBB12_977
; %bb.956:                              ;   in Loop: Header=BB12_952 Depth=1
	buffer_load_dword v2, off, s[0:3], s33 offset:144 ; 4-byte Folded Reload
	buffer_load_dword v3, off, s[0:3], s33 offset:148 ; 4-byte Folded Reload
	;; [unrolled: 1-line block ×4, first 2 shown]
	s_waitcnt vmcnt(0)
	v_add_co_u32_e32 v2, vcc, 1, v4
	v_addc_co_u32_e32 v3, vcc, 0, v5, vcc
	buffer_load_dword v4, off, s[0:3], s33 offset:128 ; 4-byte Folded Reload
	buffer_load_dword v5, off, s[0:3], s33 offset:132 ; 4-byte Folded Reload
	s_waitcnt vmcnt(0)
	v_cmp_lt_u64_e32 vcc, v[4:5], v[2:3]
	s_and_saveexec_b64 s[58:59], vcc
	s_cbranch_execz .LBB12_968
; %bb.957:                              ;   in Loop: Header=BB12_952 Depth=1
	v_and_b32_e32 v0, 64, v53
	s_mov_b32 s48, 0
	v_cmp_eq_u32_e32 vcc, 0, v0
	s_mov_b64 s[60:61], 0
                                        ; implicit-def: $sgpr62_sgpr63
                                        ; implicit-def: $sgpr72_sgpr73
                                        ; implicit-def: $sgpr74_sgpr75
	s_branch .LBB12_961
.LBB12_958:                             ;   in Loop: Header=BB12_961 Depth=2
	buffer_load_dword v4, off, s[0:3], s33 offset:128 ; 4-byte Folded Reload
	buffer_load_dword v5, off, s[0:3], s33 offset:132 ; 4-byte Folded Reload
	s_or_b64 s[88:89], s[88:89], exec
	s_waitcnt vmcnt(0)
	v_cmp_ge_u64_e64 s[18:19], v[4:5], v[2:3]
	s_orn2_b64 s[78:79], s[18:19], exec
.LBB12_959:                             ;   in Loop: Header=BB12_961 Depth=2
	s_or_b64 exec, exec, s[92:93]
	s_andn2_b64 s[18:19], s[74:75], exec
	s_and_b64 s[74:75], s[88:89], exec
	s_or_b64 s[74:75], s[18:19], s[74:75]
	s_andn2_b64 s[18:19], s[72:73], exec
	s_and_b64 s[72:73], s[78:79], exec
	s_or_b64 s[72:73], s[18:19], s[72:73]
.LBB12_960:                             ;   in Loop: Header=BB12_961 Depth=2
	s_or_b64 exec, exec, s[76:77]
	s_and_b64 s[18:19], exec, s[72:73]
	s_or_b64 s[60:61], s[18:19], s[60:61]
	s_andn2_b64 s[18:19], s[62:63], exec
	s_and_b64 s[62:63], s[74:75], exec
	s_or_b64 s[62:63], s[18:19], s[62:63]
	s_andn2_b64 exec, exec, s[60:61]
	s_cbranch_execz .LBB12_965
.LBB12_961:                             ;   Parent Loop BB12_952 Depth=1
                                        ; =>  This Inner Loop Header: Depth=2
	s_sleep 1
	buffer_load_dword v4, off, s[0:3], s33 offset:136 ; 4-byte Folded Reload
	buffer_load_dword v5, off, s[0:3], s33 offset:140 ; 4-byte Folded Reload
	s_or_b64 s[74:75], s[74:75], exec
	s_or_b64 s[72:73], s[72:73], exec
                                        ; implicit-def: $vgpr0
	s_waitcnt vmcnt(0)
	flat_load_dwordx2 v[4:5], v[4:5] glc
	s_waitcnt vmcnt(0) lgkmcnt(0)
	buffer_store_dword v4, off, s[0:3], s33 offset:128 ; 4-byte Folded Spill
	s_nop 0
	buffer_store_dword v5, off, s[0:3], s33 offset:132 ; 4-byte Folded Spill
	s_and_saveexec_b64 s[76:77], vcc
	s_cbranch_execz .LBB12_960
; %bb.962:                              ;   in Loop: Header=BB12_961 Depth=2
	s_cmpk_lt_i32 s48, 0x270f
	s_cselect_b64 s[90:91], -1, 0
	s_cmpk_gt_i32 s48, 0x270e
	s_mov_b64 s[78:79], -1
	s_cbranch_scc0 .LBB12_964
; %bb.963:                              ;   in Loop: Header=BB12_961 Depth=2
	s_trap 2
	ds_read_b64 v[4:5], v0
	s_andn2_b64 s[90:91], s[90:91], exec
	s_mov_b32 s48, 0
	s_mov_b64 s[88:89], 0
	s_waitcnt vmcnt(0) lgkmcnt(0)
	flat_load_dword v0, v[4:5] glc
	s_waitcnt vmcnt(0) lgkmcnt(0)
	buffer_wbinvl1_vol
	v_cmp_eq_u32_e64 s[18:19], 0, v0
	s_and_b64 s[18:19], s[18:19], exec
	s_or_b64 s[90:91], s[90:91], s[18:19]
	s_and_saveexec_b64 s[92:93], s[90:91]
	s_cbranch_execz .LBB12_959
	s_branch .LBB12_958
.LBB12_964:                             ;   in Loop: Header=BB12_961 Depth=2
	s_add_i32 s48, s48, 1
	s_mov_b64 s[88:89], -1
                                        ; implicit-def: $vgpr0
	s_and_saveexec_b64 s[92:93], s[90:91]
	s_cbranch_execz .LBB12_959
	s_branch .LBB12_958
.LBB12_965:                             ;   in Loop: Header=BB12_952 Depth=1
	s_or_b64 exec, exec, s[60:61]
	s_xor_b64 s[18:19], s[62:63], -1
	s_and_saveexec_b64 s[60:61], s[18:19]
	s_xor_b64 s[18:19], exec, s[60:61]
	s_cbranch_execz .LBB12_967
; %bb.966:                              ;   in Loop: Header=BB12_952 Depth=1
	v_or_b32_e32 v53, 64, v53
	ds_write_b32 v0, v0
	s_trap 2
.LBB12_967:                             ;   in Loop: Header=BB12_952 Depth=1
	s_or_b64 exec, exec, s[18:19]
.LBB12_968:                             ;   in Loop: Header=BB12_952 Depth=1
	s_or_b64 exec, exec, s[58:59]
	;;#ASMSTART
	s_wakeup
	;;#ASMEND
	buffer_load_dword v4, off, s[0:3], s33 offset:144 ; 4-byte Folded Reload
	buffer_load_dword v5, off, s[0:3], s33 offset:148 ; 4-byte Folded Reload
	;; [unrolled: 1-line block ×4, first 2 shown]
	v_and_b32_e32 v0, 0x100, v53
	v_cmp_ne_u32_e32 vcc, 0, v0
	s_mov_b64 s[18:19], -1
                                        ; implicit-def: $vgpr4_vgpr5
	s_waitcnt vmcnt(0)
	v_and_b32_e32 v0, 7, v6
	s_and_saveexec_b64 s[58:59], vcc
	s_cbranch_execz .LBB12_972
; %bb.969:                              ;   in Loop: Header=BB12_952 Depth=1
	buffer_load_dword v4, off, s[0:3], s33 offset:144 ; 4-byte Folded Reload
	buffer_load_dword v5, off, s[0:3], s33 offset:148 ; 4-byte Folded Reload
	;; [unrolled: 1-line block ×4, first 2 shown]
	s_waitcnt vmcnt(0)
	v_mad_u64_u32 v[6:7], s[18:19], v0, 24, v[4:5]
	flat_load_dword v4, v[6:7]
	s_waitcnt vmcnt(0) lgkmcnt(0)
	v_cmp_ne_u32_e32 vcc, 1, v4
	v_cmp_eq_u32_e64 s[18:19], 1, v4
                                        ; implicit-def: $vgpr4_vgpr5
	s_and_saveexec_b64 s[60:61], s[18:19]
	s_cbranch_execz .LBB12_971
; %bb.970:                              ;   in Loop: Header=BB12_952 Depth=1
	flat_load_dword v4, v[6:7] offset:4 glc
	s_waitcnt vmcnt(0) lgkmcnt(0)
	v_ashrrev_i32_e32 v5, 31, v4
	v_lshrrev_b64 v[4:5], 1, v[4:5]
.LBB12_971:                             ;   in Loop: Header=BB12_952 Depth=1
	s_or_b64 exec, exec, s[60:61]
	s_orn2_b64 s[18:19], vcc, exec
.LBB12_972:                             ;   in Loop: Header=BB12_952 Depth=1
	s_or_b64 exec, exec, s[58:59]
	s_and_saveexec_b64 s[58:59], s[18:19]
	s_cbranch_execz .LBB12_974
; %bb.973:                              ;   in Loop: Header=BB12_952 Depth=1
	buffer_load_dword v4, off, s[0:3], s33 offset:412 ; 4-byte Folded Reload
	s_waitcnt vmcnt(0)
	v_mad_i64_i32 v[4:5], s[18:19], v0, v4, 0
.LBB12_974:                             ;   in Loop: Header=BB12_952 Depth=1
	s_or_b64 exec, exec, s[58:59]
	buffer_load_dword v6, off, s[0:3], s33 offset:320 ; 4-byte Folded Reload
	buffer_load_dword v7, off, s[0:3], s33 offset:324 ; 4-byte Folded Reload
	v_lshlrev_b64 v[4:5], 1, v[4:5]
	s_waitcnt vmcnt(0)
	v_add_co_u32_e32 v4, vcc, v6, v4
	v_addc_co_u32_e32 v5, vcc, v7, v5, vcc
	ds_write_b64 v0, v[4:5] offset:728
	v_and_b32_e32 v0, 0x2000, v53
	v_cmp_ne_u32_e32 vcc, 0, v0
	s_and_saveexec_b64 s[18:19], vcc
	s_cbranch_execz .LBB12_976
; %bb.975:                              ;   in Loop: Header=BB12_952 Depth=1
	ds_read_b64 v[4:5], v0 offset:872
	s_waitcnt lgkmcnt(0)
	v_add_co_u32_e32 v4, vcc, 1, v4
	v_addc_co_u32_e32 v5, vcc, 0, v5, vcc
	ds_write_b64 v0, v[4:5] offset:872
.LBB12_976:                             ;   in Loop: Header=BB12_952 Depth=1
	s_or_b64 exec, exec, s[18:19]
	buffer_load_dword v4, off, s[0:3], s33 offset:144 ; 4-byte Folded Reload
	buffer_load_dword v5, off, s[0:3], s33 offset:148 ; 4-byte Folded Reload
	;; [unrolled: 1-line block ×4, first 2 shown]
	s_waitcnt vmcnt(0)
	v_mov_b32_e32 v7, v3
	v_mov_b32_e32 v6, v2
	buffer_store_dword v4, off, s[0:3], s33 offset:144 ; 4-byte Folded Spill
	s_nop 0
	buffer_store_dword v5, off, s[0:3], s33 offset:148 ; 4-byte Folded Spill
	buffer_store_dword v6, off, s[0:3], s33 offset:152 ; 4-byte Folded Spill
	;; [unrolled: 1-line block ×3, first 2 shown]
.LBB12_977:                             ;   in Loop: Header=BB12_952 Depth=1
	s_or_b64 exec, exec, s[20:21]
	s_and_saveexec_b64 s[18:19], s[10:11]
	s_cbranch_execz .LBB12_996
; %bb.978:                              ;   in Loop: Header=BB12_952 Depth=1
	s_and_saveexec_b64 s[20:21], s[40:41]
	s_xor_b64 s[20:21], exec, s[20:21]
	s_cbranch_execz .LBB12_993
; %bb.979:                              ;   in Loop: Header=BB12_952 Depth=1
	s_and_saveexec_b64 s[58:59], s[12:13]
	s_cbranch_execz .LBB12_992
; %bb.980:                              ;   in Loop: Header=BB12_952 Depth=1
	s_mov_b64 s[62:63], exec
	v_mbcnt_lo_u32_b32 v0, s62, 0
	v_mbcnt_hi_u32_b32 v0, s63, v0
	v_cmp_eq_u32_e32 vcc, 0, v0
	s_waitcnt vmcnt(0) lgkmcnt(0)
	buffer_wbinvl1_vol
	s_and_saveexec_b64 s[60:61], vcc
	s_cbranch_execz .LBB12_982
; %bb.981:                              ;   in Loop: Header=BB12_952 Depth=1
	s_bcnt1_i32_b64 s62, s[62:63]
	v_mov_b32_e32 v0, s62
	ds_add_u64 v0, v[0:1]
	s_trap 2
.LBB12_982:                             ;   in Loop: Header=BB12_952 Depth=1
	s_or_b64 exec, exec, s[60:61]
	s_trap 2
	ds_read_b64 v[2:3], v0
	s_waitcnt lgkmcnt(0)
	buffer_load_dword v4, off, s[0:3], s33 offset:160 ; 4-byte Folded Reload
	buffer_load_dword v5, off, s[0:3], s33 offset:164 ; 4-byte Folded Reload
	;; [unrolled: 1-line block ×3, first 2 shown]
	s_waitcnt vmcnt(0)
	v_add_co_u32_e32 v4, vcc, v4, v0
	v_addc_co_u32_e32 v5, vcc, 0, v5, vcc
	buffer_store_dword v4, off, s[0:3], s33 offset:160 ; 4-byte Folded Spill
	s_nop 0
	buffer_store_dword v5, off, s[0:3], s33 offset:164 ; 4-byte Folded Spill
	v_cmp_lt_u64_e32 vcc, v[2:3], v[4:5]
	s_and_saveexec_b64 s[60:61], vcc
	s_cbranch_execz .LBB12_991
; %bb.983:                              ;   in Loop: Header=BB12_952 Depth=1
	s_mov_b32 s90, 0
	s_mov_b64 s[62:63], 0
                                        ; implicit-def: $sgpr72_sgpr73
                                        ; implicit-def: $sgpr74_sgpr75
	s_branch .LBB12_985
.LBB12_984:                             ;   in Loop: Header=BB12_985 Depth=2
	s_or_b64 exec, exec, s[78:79]
	s_and_b64 s[76:77], exec, s[88:89]
	s_or_b64 s[62:63], s[76:77], s[62:63]
	s_andn2_b64 s[72:73], s[72:73], exec
	s_and_b64 s[76:77], s[74:75], exec
	s_or_b64 s[72:73], s[72:73], s[76:77]
	s_andn2_b64 exec, exec, s[62:63]
	s_cbranch_execz .LBB12_989
.LBB12_985:                             ;   Parent Loop BB12_952 Depth=1
                                        ; =>  This Inner Loop Header: Depth=2
	s_add_i32 s90, s90, 1
	s_cmpk_lg_i32 s90, 0x2710
	s_cselect_b64 s[76:77], -1, 0
	s_and_b64 vcc, exec, s[76:77]
	s_cbranch_vccz .LBB12_987
; %bb.986:                              ;   in Loop: Header=BB12_985 Depth=2
	s_mov_b64 s[88:89], -1
	s_or_b64 s[74:75], s[74:75], exec
	s_and_saveexec_b64 s[78:79], s[76:77]
	s_cbranch_execz .LBB12_984
	s_branch .LBB12_988
.LBB12_987:                             ;   in Loop: Header=BB12_985 Depth=2
	s_trap 2
	ds_read_b64 v[2:3], v0
	s_andn2_b64 s[76:77], s[76:77], exec
	s_mov_b32 s90, 0
	s_waitcnt vmcnt(0) lgkmcnt(0)
	flat_load_dword v0, v[2:3] glc
	s_waitcnt vmcnt(0) lgkmcnt(0)
	buffer_wbinvl1_vol
	v_cmp_eq_u32_e32 vcc, 0, v0
	s_and_b64 s[78:79], vcc, exec
	s_or_b64 s[76:77], s[76:77], s[78:79]
	s_mov_b64 s[88:89], -1
	s_or_b64 s[74:75], s[74:75], exec
	s_and_saveexec_b64 s[78:79], s[76:77]
	s_cbranch_execz .LBB12_984
.LBB12_988:                             ;   in Loop: Header=BB12_985 Depth=2
	s_sleep 1
	s_trap 2
	ds_read_b64 v[2:3], v0
	s_waitcnt lgkmcnt(0)
	buffer_load_dword v4, off, s[0:3], s33 offset:160 ; 4-byte Folded Reload
	buffer_load_dword v5, off, s[0:3], s33 offset:164 ; 4-byte Folded Reload
	s_andn2_b64 s[74:75], s[74:75], exec
	s_waitcnt vmcnt(0)
	v_cmp_ge_u64_e32 vcc, v[2:3], v[4:5]
	s_orn2_b64 s[88:89], vcc, exec
	s_branch .LBB12_984
.LBB12_989:                             ;   in Loop: Header=BB12_952 Depth=1
	s_or_b64 exec, exec, s[62:63]
	s_and_saveexec_b64 s[62:63], s[72:73]
	s_xor_b64 s[62:63], exec, s[62:63]
	s_cbranch_execz .LBB12_991
; %bb.990:                              ;   in Loop: Header=BB12_952 Depth=1
	v_mov_b32_e32 v0, 1
	ds_write_b32 v0, v0
	s_trap 2
.LBB12_991:                             ;   in Loop: Header=BB12_952 Depth=1
	s_or_b64 exec, exec, s[60:61]
	;;#ASMSTART
	s_wakeup
	;;#ASMEND
.LBB12_992:                             ;   in Loop: Header=BB12_952 Depth=1
	s_or_b64 exec, exec, s[58:59]
.LBB12_993:                             ;   in Loop: Header=BB12_952 Depth=1
	s_andn2_saveexec_b64 s[20:21], s[20:21]
	s_cbranch_execz .LBB12_995
; %bb.994:                              ;   in Loop: Header=BB12_952 Depth=1
	s_waitcnt vmcnt(0) lgkmcnt(0)
	buffer_wbinvl1_vol
	s_barrier
.LBB12_995:                             ;   in Loop: Header=BB12_952 Depth=1
	s_or_b64 exec, exec, s[20:21]
.LBB12_996:                             ;   in Loop: Header=BB12_952 Depth=1
	s_or_b64 exec, exec, s[18:19]
	s_trap 2
	ds_read_b32 v2, v0
	v_and_b32_e32 v0, 0x4000, v53
	v_cmp_ne_u32_e32 vcc, 0, v0
	s_and_b64 s[20:21], s[44:45], vcc
	s_and_saveexec_b64 s[18:19], s[20:21]
	s_cbranch_execz .LBB12_1015
; %bb.997:                              ;   in Loop: Header=BB12_952 Depth=1
	s_and_saveexec_b64 s[20:21], s[40:41]
	s_xor_b64 s[20:21], exec, s[20:21]
	s_cbranch_execz .LBB12_1012
; %bb.998:                              ;   in Loop: Header=BB12_952 Depth=1
	s_and_saveexec_b64 s[58:59], s[12:13]
	s_cbranch_execz .LBB12_1011
; %bb.999:                              ;   in Loop: Header=BB12_952 Depth=1
	s_mov_b64 s[62:63], exec
	v_mbcnt_lo_u32_b32 v0, s62, 0
	v_mbcnt_hi_u32_b32 v0, s63, v0
	v_cmp_eq_u32_e32 vcc, 0, v0
	s_waitcnt vmcnt(0) lgkmcnt(0)
	buffer_wbinvl1_vol
	s_and_saveexec_b64 s[60:61], vcc
	s_cbranch_execz .LBB12_1001
; %bb.1000:                             ;   in Loop: Header=BB12_952 Depth=1
	s_bcnt1_i32_b64 s62, s[62:63]
	v_mov_b32_e32 v0, s62
	ds_add_u64 v0, v[0:1]
	s_trap 2
.LBB12_1001:                            ;   in Loop: Header=BB12_952 Depth=1
	s_or_b64 exec, exec, s[60:61]
	s_trap 2
	ds_read_b64 v[3:4], v0
	s_waitcnt lgkmcnt(0)
	buffer_load_dword v5, off, s[0:3], s33 offset:160 ; 4-byte Folded Reload
	buffer_load_dword v6, off, s[0:3], s33 offset:164 ; 4-byte Folded Reload
	;; [unrolled: 1-line block ×3, first 2 shown]
	s_waitcnt vmcnt(0)
	v_add_co_u32_e32 v5, vcc, v5, v0
	v_addc_co_u32_e32 v6, vcc, 0, v6, vcc
	buffer_store_dword v5, off, s[0:3], s33 offset:160 ; 4-byte Folded Spill
	s_nop 0
	buffer_store_dword v6, off, s[0:3], s33 offset:164 ; 4-byte Folded Spill
	v_cmp_lt_u64_e32 vcc, v[3:4], v[5:6]
	s_and_saveexec_b64 s[60:61], vcc
	s_cbranch_execz .LBB12_1010
; %bb.1002:                             ;   in Loop: Header=BB12_952 Depth=1
	s_mov_b32 s90, 0
	s_mov_b64 s[62:63], 0
                                        ; implicit-def: $sgpr72_sgpr73
                                        ; implicit-def: $sgpr74_sgpr75
	s_branch .LBB12_1004
.LBB12_1003:                            ;   in Loop: Header=BB12_1004 Depth=2
	s_or_b64 exec, exec, s[78:79]
	s_and_b64 s[76:77], exec, s[88:89]
	s_or_b64 s[62:63], s[76:77], s[62:63]
	s_andn2_b64 s[72:73], s[72:73], exec
	s_and_b64 s[76:77], s[74:75], exec
	s_or_b64 s[72:73], s[72:73], s[76:77]
	s_andn2_b64 exec, exec, s[62:63]
	s_cbranch_execz .LBB12_1008
.LBB12_1004:                            ;   Parent Loop BB12_952 Depth=1
                                        ; =>  This Inner Loop Header: Depth=2
	s_add_i32 s90, s90, 1
	s_cmpk_lg_i32 s90, 0x2710
	s_cselect_b64 s[76:77], -1, 0
	s_and_b64 vcc, exec, s[76:77]
	s_cbranch_vccz .LBB12_1006
; %bb.1005:                             ;   in Loop: Header=BB12_1004 Depth=2
	s_mov_b64 s[88:89], -1
	s_or_b64 s[74:75], s[74:75], exec
	s_and_saveexec_b64 s[78:79], s[76:77]
	s_cbranch_execz .LBB12_1003
	s_branch .LBB12_1007
.LBB12_1006:                            ;   in Loop: Header=BB12_1004 Depth=2
	s_trap 2
	ds_read_b64 v[3:4], v0
	s_andn2_b64 s[76:77], s[76:77], exec
	s_mov_b32 s90, 0
	s_waitcnt vmcnt(0) lgkmcnt(0)
	flat_load_dword v0, v[3:4] glc
	s_waitcnt vmcnt(0) lgkmcnt(0)
	buffer_wbinvl1_vol
	v_cmp_eq_u32_e32 vcc, 0, v0
	s_and_b64 s[78:79], vcc, exec
	s_or_b64 s[76:77], s[76:77], s[78:79]
	s_mov_b64 s[88:89], -1
	s_or_b64 s[74:75], s[74:75], exec
	s_and_saveexec_b64 s[78:79], s[76:77]
	s_cbranch_execz .LBB12_1003
.LBB12_1007:                            ;   in Loop: Header=BB12_1004 Depth=2
	s_sleep 1
	s_trap 2
	ds_read_b64 v[3:4], v0
	s_waitcnt lgkmcnt(0)
	buffer_load_dword v5, off, s[0:3], s33 offset:160 ; 4-byte Folded Reload
	buffer_load_dword v6, off, s[0:3], s33 offset:164 ; 4-byte Folded Reload
	s_andn2_b64 s[74:75], s[74:75], exec
	s_waitcnt vmcnt(0)
	v_cmp_ge_u64_e32 vcc, v[3:4], v[5:6]
	s_orn2_b64 s[88:89], vcc, exec
	s_branch .LBB12_1003
.LBB12_1008:                            ;   in Loop: Header=BB12_952 Depth=1
	s_or_b64 exec, exec, s[62:63]
	s_and_saveexec_b64 s[62:63], s[72:73]
	s_xor_b64 s[62:63], exec, s[62:63]
	s_cbranch_execz .LBB12_1010
; %bb.1009:                             ;   in Loop: Header=BB12_952 Depth=1
	v_mov_b32_e32 v0, 1
	ds_write_b32 v0, v0
	s_trap 2
.LBB12_1010:                            ;   in Loop: Header=BB12_952 Depth=1
	s_or_b64 exec, exec, s[60:61]
	;;#ASMSTART
	s_wakeup
	;;#ASMEND
.LBB12_1011:                            ;   in Loop: Header=BB12_952 Depth=1
	s_or_b64 exec, exec, s[58:59]
.LBB12_1012:                            ;   in Loop: Header=BB12_952 Depth=1
	s_andn2_saveexec_b64 s[20:21], s[20:21]
	s_cbranch_execz .LBB12_1014
; %bb.1013:                             ;   in Loop: Header=BB12_952 Depth=1
	s_waitcnt vmcnt(0) lgkmcnt(0)
	buffer_wbinvl1_vol
	s_barrier
.LBB12_1014:                            ;   in Loop: Header=BB12_952 Depth=1
	s_or_b64 exec, exec, s[20:21]
.LBB12_1015:                            ;   in Loop: Header=BB12_952 Depth=1
	s_or_b64 exec, exec, s[18:19]
	s_trap 2
	ds_read_b64 v[3:4], v0
	v_min_u32_e32 v52, v52, v51
	s_waitcnt lgkmcnt(0)
	buffer_store_dword v3, off, s[0:3], s33 offset:428 ; 4-byte Folded Spill
	s_nop 0
	buffer_store_dword v4, off, s[0:3], s33 offset:432 ; 4-byte Folded Spill
	v_cmp_eq_u64_e32 vcc, 0, v[3:4]
	s_cbranch_vccnz .LBB12_1023
; %bb.1016:                             ;   in Loop: Header=BB12_952 Depth=1
	s_trap 2
	ds_read_b64 v[31:32], v0
	s_waitcnt lgkmcnt(0)
	v_cmp_eq_u64_e32 vcc, 0, v[31:32]
	s_cbranch_vccnz .LBB12_1023
; %bb.1017:                             ;   in Loop: Header=BB12_952 Depth=1
	s_mov_b64 s[20:21], -1
	s_and_saveexec_b64 s[18:19], s[14:15]
	s_cbranch_execz .LBB12_1019
; %bb.1018:                             ;   in Loop: Header=BB12_952 Depth=1
	ds_read_b32 v0, v0 offset:720
	s_waitcnt lgkmcnt(0)
	v_and_b32_e32 v0, 15, v0
	v_cmp_eq_u32_e32 vcc, 0, v0
	s_orn2_b64 s[20:21], vcc, exec
.LBB12_1019:                            ;   in Loop: Header=BB12_952 Depth=1
	s_or_b64 exec, exec, s[18:19]
	s_and_saveexec_b64 s[18:19], s[16:17]
	s_cbranch_execz .LBB12_1021
; %bb.1020:                             ;   in Loop: Header=BB12_952 Depth=1
	ds_read_b32 v0, v0 offset:784
	s_waitcnt lgkmcnt(0)
	v_and_b32_e32 v0, 15, v0
	v_cmp_eq_u32_e32 vcc, 0, v0
	s_and_b64 s[58:59], s[20:21], vcc
	s_andn2_b64 s[20:21], s[20:21], exec
	s_and_b64 s[58:59], s[58:59], exec
	s_or_b64 s[20:21], s[20:21], s[58:59]
.LBB12_1021:                            ;   in Loop: Header=BB12_952 Depth=1
	s_or_b64 exec, exec, s[18:19]
	s_xor_b64 s[20:21], s[20:21], -1
	v_cndmask_b32_e64 v0, 0, 1, s[20:21]
	v_cmp_eq_u32_e64 s[18:19], 0, v2
	s_mov_b64 s[60:61], -1
	v_cmp_ne_u32_e32 vcc, 0, v0
	s_cbranch_vccz .LBB12_1024
; %bb.1022:                             ;   in Loop: Header=BB12_952 Depth=1
	s_mov_b64 s[60:61], 0
	s_mov_b64 s[58:59], -1
	s_branch .LBB12_1025
.LBB12_1023:                            ;   in Loop: Header=BB12_952 Depth=1
	s_mov_b64 s[18:19], 0
	s_and_saveexec_b64 s[20:21], s[10:11]
	s_cbranch_execnz .LBB12_1767
	s_branch .LBB12_1785
.LBB12_1024:                            ;   in Loop: Header=BB12_952 Depth=1
	s_mov_b64 s[58:59], 0
.LBB12_1025:                            ;   in Loop: Header=BB12_952 Depth=1
	v_cndmask_b32_e64 v28, 0, v52, s[18:19]
	v_lshlrev_b32_e32 v54, 1, v28
	s_andn2_b64 vcc, exec, s[60:61]
	v_mov_b32_e32 v8, 0
	s_cbranch_vccnz .LBB12_1291
; %bb.1026:                             ;   in Loop: Header=BB12_952 Depth=1
	v_lshrrev_b32_e32 v0, 11, v28
	buffer_store_dword v0, off, s[0:3], s33 offset:500 ; 4-byte Folded Spill
	v_sub_u32_e32 v2, v0, v50
	buffer_load_dword v0, off, s[0:3], s33 offset:508 ; 4-byte Folded Reload
	s_mov_b64 s[20:21], 0
	buffer_store_dword v28, off, s[0:3], s33 offset:480 ; 4-byte Folded Spill
                                        ; implicit-def: $vgpr56_vgpr57
                                        ; implicit-def: $vgpr36_vgpr37
                                        ; implicit-def: $vgpr26_vgpr27
                                        ; implicit-def: $vgpr14_vgpr15
	s_waitcnt vmcnt(1)
	v_add_co_u32_e32 v30, vcc, v31, v0
	buffer_load_dword v0, off, s[0:3], s33 offset:512 ; 4-byte Folded Reload
	s_nop 0
	buffer_store_dword v31, off, s[0:3], s33 offset:484 ; 4-byte Folded Spill
	s_nop 0
	buffer_store_dword v32, off, s[0:3], s33 offset:488 ; 4-byte Folded Spill
	buffer_store_dword v2, off, s[0:3], s33 offset:248 ; 4-byte Folded Spill
	s_waitcnt vmcnt(3)
	v_addc_co_u32_e32 v31, vcc, v32, v0, vcc
	v_cmp_lt_i32_e32 vcc, 0, v2
                                        ; implicit-def: $vgpr2_vgpr3
	buffer_store_dword v2, off, s[0:3], s33 offset:216 ; 4-byte Folded Spill
	s_nop 0
	buffer_store_dword v3, off, s[0:3], s33 offset:220 ; 4-byte Folded Spill
	buffer_store_dword v4, off, s[0:3], s33 offset:224 ; 4-byte Folded Spill
	buffer_store_dword v5, off, s[0:3], s33 offset:228 ; 4-byte Folded Spill
                                        ; implicit-def: $vgpr2_vgpr3
	buffer_store_dword v2, off, s[0:3], s33 offset:200 ; 4-byte Folded Spill
	s_nop 0
	buffer_store_dword v3, off, s[0:3], s33 offset:204 ; 4-byte Folded Spill
	buffer_store_dword v4, off, s[0:3], s33 offset:208 ; 4-byte Folded Spill
	buffer_store_dword v5, off, s[0:3], s33 offset:212 ; 4-byte Folded Spill
	;; [unrolled: 6-line block ×4, first 2 shown]
	s_and_saveexec_b64 s[18:19], vcc
	s_cbranch_execz .LBB12_1293
; %bb.1027:                             ;   in Loop: Header=BB12_952 Depth=1
	buffer_store_dword v54, off, s[0:3], s33 offset:492 ; 4-byte Folded Spill
	buffer_store_dword v52, off, s[0:3], s33 offset:472 ; 4-byte Folded Spill
	;; [unrolled: 1-line block ×3, first 2 shown]
	s_nop 0
	buffer_store_dword v52, off, s[0:3], s33 offset:468 ; 4-byte Folded Spill
	buffer_store_dword v48, off, s[0:3], s33 offset:448 ; 4-byte Folded Spill
	s_nop 0
	buffer_store_dword v49, off, s[0:3], s33 offset:452 ; 4-byte Folded Spill
	buffer_store_dword v53, off, s[0:3], s33 offset:456 ; 4-byte Folded Spill
	s_trap 2
	ds_read_b64 v[2:3], v0
	buffer_load_dword v0, off, s[0:3], s33 offset:508 ; 4-byte Folded Reload
	s_mov_b64 s[62:63], 0
                                        ; implicit-def: $sgpr60_sgpr61
                                        ; implicit-def: $vgpr56_vgpr57
                                        ; implicit-def: $vgpr36_vgpr37
                                        ; implicit-def: $vgpr26_vgpr27
                                        ; implicit-def: $vgpr14_vgpr15
	s_waitcnt vmcnt(0) lgkmcnt(0)
	v_add_co_u32_e32 v60, vcc, v2, v0
	buffer_load_dword v2, off, s[0:3], s33 offset:512 ; 4-byte Folded Reload
	s_waitcnt vmcnt(0)
	v_addc_co_u32_e32 v61, vcc, v3, v2, vcc
	buffer_load_dword v3, off, s[0:3], s33 offset:428 ; 4-byte Folded Reload
	buffer_load_dword v4, off, s[0:3], s33 offset:432 ; 4-byte Folded Reload
	s_waitcnt vmcnt(1)
	v_add_co_u32_e32 v22, vcc, v3, v0
	s_waitcnt vmcnt(0)
	v_addc_co_u32_e32 v23, vcc, v4, v2, vcc
                                        ; implicit-def: $vgpr2_vgpr3
	buffer_store_dword v2, off, s[0:3], s33 offset:216 ; 4-byte Folded Spill
	s_nop 0
	buffer_store_dword v3, off, s[0:3], s33 offset:220 ; 4-byte Folded Spill
	buffer_store_dword v4, off, s[0:3], s33 offset:224 ; 4-byte Folded Spill
	buffer_store_dword v5, off, s[0:3], s33 offset:228 ; 4-byte Folded Spill
                                        ; implicit-def: $vgpr2_vgpr3
	buffer_store_dword v2, off, s[0:3], s33 offset:200 ; 4-byte Folded Spill
	s_nop 0
	buffer_store_dword v3, off, s[0:3], s33 offset:204 ; 4-byte Folded Spill
	buffer_store_dword v4, off, s[0:3], s33 offset:208 ; 4-byte Folded Spill
	buffer_store_dword v5, off, s[0:3], s33 offset:212 ; 4-byte Folded Spill
	;; [unrolled: 6-line block ×4, first 2 shown]
	s_branch .LBB12_1029
.LBB12_1028:                            ;   in Loop: Header=BB12_1029 Depth=2
	s_or_b64 exec, exec, s[72:73]
	buffer_load_dword v0, off, s[0:3], s33 offset:248 ; 4-byte Folded Reload
	s_waitcnt vmcnt(0)
	v_cmp_gt_i32_e32 vcc, 1, v0
	s_or_b64 s[20:21], vcc, s[20:21]
	s_andn2_b64 s[60:61], s[60:61], exec
	s_and_b64 s[72:73], s[62:63], exec
	s_or_b64 s[60:61], s[60:61], s[72:73]
	s_andn2_b64 exec, exec, s[20:21]
	s_cbranch_execz .LBB12_1292
.LBB12_1029:                            ;   Parent Loop BB12_952 Depth=1
                                        ; =>  This Inner Loop Header: Depth=2
	global_load_dwordx4 v[10:13], v[22:23], off glc slc
	global_load_dwordx4 v[2:5], v[22:23], off offset:1024 glc slc
	global_load_dwordx4 v[40:43], v[22:23], off offset:2048 glc slc
	;; [unrolled: 1-line block ×3, first 2 shown]
	global_load_dwordx4 v[18:21], v[60:61], off glc slc
	global_load_dwordx4 v[6:9], v[60:61], off offset:1024 glc slc
	global_load_dwordx4 v[44:47], v[60:61], off offset:2048 glc slc
	;; [unrolled: 1-line block ×3, first 2 shown]
	s_and_saveexec_b64 s[72:73], s[62:63]
	s_cbranch_execz .LBB12_1159
; %bb.1030:                             ;   in Loop: Header=BB12_1029 Depth=2
	buffer_load_dword v32, off, s[0:3], s33 offset:216 ; 4-byte Folded Reload
	buffer_load_dword v33, off, s[0:3], s33 offset:220 ; 4-byte Folded Reload
	buffer_load_dword v34, off, s[0:3], s33 offset:224 ; 4-byte Folded Reload
	buffer_load_dword v35, off, s[0:3], s33 offset:228 ; 4-byte Folded Reload
	v_lshlrev_b32_e32 v0, 16, v56
	s_waitcnt vmcnt(3)
	v_lshlrev_b32_e32 v24, 16, v32
	v_add_f32_e32 v0, v0, v24
	v_and_b32_e32 v24, 0x7f800000, v0
	v_cmp_ne_u32_e32 vcc, s37, v24
                                        ; implicit-def: $vgpr24
                                        ; kill: killed $vgpr24
	s_and_saveexec_b64 s[62:63], vcc
	s_xor_b64 s[62:63], exec, s[62:63]
	s_cbranch_execz .LBB12_1032
; %bb.1031:                             ;   in Loop: Header=BB12_1029 Depth=2
	v_bfe_u32 v24, v0, 16, 1
	v_add3_u32 v0, v0, v24, s38
	buffer_store_dword v0, off, s[0:3], s33 offset:328 ; 4-byte Folded Spill
                                        ; implicit-def: $vgpr0
.LBB12_1032:                            ;   in Loop: Header=BB12_1029 Depth=2
	s_andn2_saveexec_b64 s[62:63], s[62:63]
	s_cbranch_execz .LBB12_1034
; %bb.1033:                             ;   in Loop: Header=BB12_1029 Depth=2
	v_or_b32_e32 v24, 0x10000, v0
	v_cmp_eq_u32_sdwa vcc, v0, v1 src0_sel:WORD_0 src1_sel:DWORD
	v_cndmask_b32_e32 v0, v24, v0, vcc
	buffer_store_dword v0, off, s[0:3], s33 offset:328 ; 4-byte Folded Spill
.LBB12_1034:                            ;   in Loop: Header=BB12_1029 Depth=2
	s_or_b64 exec, exec, s[62:63]
	buffer_load_dword v32, off, s[0:3], s33 offset:216 ; 4-byte Folded Reload
	buffer_load_dword v33, off, s[0:3], s33 offset:220 ; 4-byte Folded Reload
	buffer_load_dword v34, off, s[0:3], s33 offset:224 ; 4-byte Folded Reload
	buffer_load_dword v35, off, s[0:3], s33 offset:228 ; 4-byte Folded Reload
	v_and_b32_e32 v0, 0xffff0000, v56
	s_waitcnt vmcnt(3)
	v_and_b32_e32 v24, 0xffff0000, v32
	v_add_f32_e32 v0, v0, v24
	v_and_b32_e32 v24, 0x7f800000, v0
	v_cmp_ne_u32_e32 vcc, s37, v24
                                        ; implicit-def: $vgpr24
                                        ; kill: killed $vgpr24
	s_and_saveexec_b64 s[62:63], vcc
	s_xor_b64 s[62:63], exec, s[62:63]
	s_cbranch_execz .LBB12_1036
; %bb.1035:                             ;   in Loop: Header=BB12_1029 Depth=2
	v_bfe_u32 v24, v0, 16, 1
	v_add3_u32 v0, v0, v24, s38
	buffer_store_dword v0, off, s[0:3], s33 offset:332 ; 4-byte Folded Spill
                                        ; implicit-def: $vgpr0
.LBB12_1036:                            ;   in Loop: Header=BB12_1029 Depth=2
	s_andn2_saveexec_b64 s[62:63], s[62:63]
	s_cbranch_execz .LBB12_1038
; %bb.1037:                             ;   in Loop: Header=BB12_1029 Depth=2
	v_or_b32_e32 v24, 0x10000, v0
	v_cmp_eq_u32_sdwa vcc, v0, v1 src0_sel:WORD_0 src1_sel:DWORD
	v_cndmask_b32_e32 v0, v24, v0, vcc
	buffer_store_dword v0, off, s[0:3], s33 offset:332 ; 4-byte Folded Spill
.LBB12_1038:                            ;   in Loop: Header=BB12_1029 Depth=2
	s_or_b64 exec, exec, s[62:63]
	buffer_load_dword v32, off, s[0:3], s33 offset:216 ; 4-byte Folded Reload
	buffer_load_dword v33, off, s[0:3], s33 offset:220 ; 4-byte Folded Reload
	buffer_load_dword v34, off, s[0:3], s33 offset:224 ; 4-byte Folded Reload
	buffer_load_dword v35, off, s[0:3], s33 offset:228 ; 4-byte Folded Reload
	v_lshlrev_b32_e32 v0, 16, v57
	s_waitcnt vmcnt(2)
	v_lshlrev_b32_e32 v24, 16, v33
	v_add_f32_e32 v0, v0, v24
	v_and_b32_e32 v24, 0x7f800000, v0
	v_cmp_ne_u32_e32 vcc, s37, v24
                                        ; implicit-def: $vgpr24
                                        ; kill: killed $vgpr24
	s_and_saveexec_b64 s[62:63], vcc
	s_xor_b64 s[62:63], exec, s[62:63]
	s_cbranch_execz .LBB12_1040
; %bb.1039:                             ;   in Loop: Header=BB12_1029 Depth=2
	v_bfe_u32 v24, v0, 16, 1
	v_add3_u32 v0, v0, v24, s38
	buffer_store_dword v0, off, s[0:3], s33 offset:340 ; 4-byte Folded Spill
                                        ; implicit-def: $vgpr0
.LBB12_1040:                            ;   in Loop: Header=BB12_1029 Depth=2
	s_andn2_saveexec_b64 s[62:63], s[62:63]
	s_cbranch_execz .LBB12_1042
; %bb.1041:                             ;   in Loop: Header=BB12_1029 Depth=2
	v_or_b32_e32 v24, 0x10000, v0
	v_cmp_eq_u32_sdwa vcc, v0, v1 src0_sel:WORD_0 src1_sel:DWORD
	v_cndmask_b32_e32 v0, v24, v0, vcc
	buffer_store_dword v0, off, s[0:3], s33 offset:340 ; 4-byte Folded Spill
.LBB12_1042:                            ;   in Loop: Header=BB12_1029 Depth=2
	s_or_b64 exec, exec, s[62:63]
	buffer_load_dword v32, off, s[0:3], s33 offset:216 ; 4-byte Folded Reload
	buffer_load_dword v33, off, s[0:3], s33 offset:220 ; 4-byte Folded Reload
	buffer_load_dword v34, off, s[0:3], s33 offset:224 ; 4-byte Folded Reload
	buffer_load_dword v35, off, s[0:3], s33 offset:228 ; 4-byte Folded Reload
	v_and_b32_e32 v0, 0xffff0000, v57
	s_waitcnt vmcnt(2)
	v_and_b32_e32 v24, 0xffff0000, v33
	v_add_f32_e32 v0, v0, v24
	v_and_b32_e32 v24, 0x7f800000, v0
	v_cmp_ne_u32_e32 vcc, s37, v24
                                        ; implicit-def: $vgpr24
                                        ; kill: killed $vgpr24
	s_and_saveexec_b64 s[62:63], vcc
	s_xor_b64 s[62:63], exec, s[62:63]
	s_cbranch_execz .LBB12_1044
; %bb.1043:                             ;   in Loop: Header=BB12_1029 Depth=2
	v_bfe_u32 v24, v0, 16, 1
	v_add3_u32 v0, v0, v24, s38
	buffer_store_dword v0, off, s[0:3], s33 offset:344 ; 4-byte Folded Spill
                                        ; implicit-def: $vgpr0
.LBB12_1044:                            ;   in Loop: Header=BB12_1029 Depth=2
	s_andn2_saveexec_b64 s[62:63], s[62:63]
	s_cbranch_execz .LBB12_1046
; %bb.1045:                             ;   in Loop: Header=BB12_1029 Depth=2
	v_or_b32_e32 v24, 0x10000, v0
	v_cmp_eq_u32_sdwa vcc, v0, v1 src0_sel:WORD_0 src1_sel:DWORD
	v_cndmask_b32_e32 v0, v24, v0, vcc
	buffer_store_dword v0, off, s[0:3], s33 offset:344 ; 4-byte Folded Spill
.LBB12_1046:                            ;   in Loop: Header=BB12_1029 Depth=2
	s_or_b64 exec, exec, s[62:63]
	buffer_load_dword v32, off, s[0:3], s33 offset:216 ; 4-byte Folded Reload
	buffer_load_dword v33, off, s[0:3], s33 offset:220 ; 4-byte Folded Reload
	buffer_load_dword v34, off, s[0:3], s33 offset:224 ; 4-byte Folded Reload
	buffer_load_dword v35, off, s[0:3], s33 offset:228 ; 4-byte Folded Reload
	v_lshlrev_b32_e32 v0, 16, v58
	s_waitcnt vmcnt(1)
	v_lshlrev_b32_e32 v24, 16, v34
	v_add_f32_e32 v0, v0, v24
	v_and_b32_e32 v24, 0x7f800000, v0
	v_cmp_ne_u32_e32 vcc, s37, v24
                                        ; implicit-def: $vgpr24
                                        ; kill: killed $vgpr24
	s_and_saveexec_b64 s[62:63], vcc
	s_xor_b64 s[62:63], exec, s[62:63]
	s_cbranch_execz .LBB12_1048
; %bb.1047:                             ;   in Loop: Header=BB12_1029 Depth=2
	v_bfe_u32 v24, v0, 16, 1
	v_add3_u32 v0, v0, v24, s38
	buffer_store_dword v0, off, s[0:3], s33 offset:348 ; 4-byte Folded Spill
                                        ; implicit-def: $vgpr0
.LBB12_1048:                            ;   in Loop: Header=BB12_1029 Depth=2
	s_andn2_saveexec_b64 s[62:63], s[62:63]
	s_cbranch_execz .LBB12_1050
; %bb.1049:                             ;   in Loop: Header=BB12_1029 Depth=2
	v_or_b32_e32 v24, 0x10000, v0
	v_cmp_eq_u32_sdwa vcc, v0, v1 src0_sel:WORD_0 src1_sel:DWORD
	v_cndmask_b32_e32 v0, v24, v0, vcc
	buffer_store_dword v0, off, s[0:3], s33 offset:348 ; 4-byte Folded Spill
.LBB12_1050:                            ;   in Loop: Header=BB12_1029 Depth=2
	s_or_b64 exec, exec, s[62:63]
	buffer_load_dword v32, off, s[0:3], s33 offset:216 ; 4-byte Folded Reload
	buffer_load_dword v33, off, s[0:3], s33 offset:220 ; 4-byte Folded Reload
	buffer_load_dword v34, off, s[0:3], s33 offset:224 ; 4-byte Folded Reload
	buffer_load_dword v35, off, s[0:3], s33 offset:228 ; 4-byte Folded Reload
	v_and_b32_e32 v0, 0xffff0000, v58
	s_waitcnt vmcnt(1)
	v_and_b32_e32 v24, 0xffff0000, v34
	v_add_f32_e32 v0, v0, v24
	v_and_b32_e32 v24, 0x7f800000, v0
	v_cmp_ne_u32_e32 vcc, s37, v24
                                        ; implicit-def: $vgpr24
                                        ; kill: killed $vgpr24
	s_and_saveexec_b64 s[62:63], vcc
	s_xor_b64 s[62:63], exec, s[62:63]
	s_cbranch_execz .LBB12_1052
; %bb.1051:                             ;   in Loop: Header=BB12_1029 Depth=2
	v_bfe_u32 v24, v0, 16, 1
	v_add3_u32 v0, v0, v24, s38
	buffer_store_dword v0, off, s[0:3], s33 offset:356 ; 4-byte Folded Spill
                                        ; implicit-def: $vgpr0
.LBB12_1052:                            ;   in Loop: Header=BB12_1029 Depth=2
	s_andn2_saveexec_b64 s[62:63], s[62:63]
	s_cbranch_execz .LBB12_1054
; %bb.1053:                             ;   in Loop: Header=BB12_1029 Depth=2
	v_or_b32_e32 v24, 0x10000, v0
	v_cmp_eq_u32_sdwa vcc, v0, v1 src0_sel:WORD_0 src1_sel:DWORD
	v_cndmask_b32_e32 v0, v24, v0, vcc
	buffer_store_dword v0, off, s[0:3], s33 offset:356 ; 4-byte Folded Spill
.LBB12_1054:                            ;   in Loop: Header=BB12_1029 Depth=2
	s_or_b64 exec, exec, s[62:63]
	buffer_load_dword v32, off, s[0:3], s33 offset:216 ; 4-byte Folded Reload
	buffer_load_dword v33, off, s[0:3], s33 offset:220 ; 4-byte Folded Reload
	buffer_load_dword v34, off, s[0:3], s33 offset:224 ; 4-byte Folded Reload
	buffer_load_dword v35, off, s[0:3], s33 offset:228 ; 4-byte Folded Reload
	v_lshlrev_b32_e32 v0, 16, v59
	s_waitcnt vmcnt(0)
	v_lshlrev_b32_e32 v24, 16, v35
	v_add_f32_e32 v0, v0, v24
	v_and_b32_e32 v24, 0x7f800000, v0
	v_cmp_ne_u32_e32 vcc, s37, v24
                                        ; implicit-def: $vgpr24
                                        ; kill: killed $vgpr24
	s_and_saveexec_b64 s[62:63], vcc
	s_xor_b64 s[62:63], exec, s[62:63]
	s_cbranch_execz .LBB12_1056
; %bb.1055:                             ;   in Loop: Header=BB12_1029 Depth=2
	v_bfe_u32 v24, v0, 16, 1
	v_add3_u32 v0, v0, v24, s38
	buffer_store_dword v0, off, s[0:3], s33 offset:368 ; 4-byte Folded Spill
                                        ; implicit-def: $vgpr0
.LBB12_1056:                            ;   in Loop: Header=BB12_1029 Depth=2
	s_andn2_saveexec_b64 s[62:63], s[62:63]
	s_cbranch_execz .LBB12_1058
; %bb.1057:                             ;   in Loop: Header=BB12_1029 Depth=2
	v_or_b32_e32 v24, 0x10000, v0
	v_cmp_eq_u32_sdwa vcc, v0, v1 src0_sel:WORD_0 src1_sel:DWORD
	v_cndmask_b32_e32 v0, v24, v0, vcc
	buffer_store_dword v0, off, s[0:3], s33 offset:368 ; 4-byte Folded Spill
.LBB12_1058:                            ;   in Loop: Header=BB12_1029 Depth=2
	s_or_b64 exec, exec, s[62:63]
	buffer_load_dword v32, off, s[0:3], s33 offset:216 ; 4-byte Folded Reload
	buffer_load_dword v33, off, s[0:3], s33 offset:220 ; 4-byte Folded Reload
	buffer_load_dword v34, off, s[0:3], s33 offset:224 ; 4-byte Folded Reload
	buffer_load_dword v35, off, s[0:3], s33 offset:228 ; 4-byte Folded Reload
	v_and_b32_e32 v0, 0xffff0000, v59
	s_waitcnt vmcnt(0)
	v_and_b32_e32 v24, 0xffff0000, v35
	v_add_f32_e32 v0, v0, v24
	v_and_b32_e32 v24, 0x7f800000, v0
	v_cmp_ne_u32_e32 vcc, s37, v24
                                        ; implicit-def: $vgpr24
                                        ; kill: killed $vgpr24
	s_and_saveexec_b64 s[62:63], vcc
	s_xor_b64 s[62:63], exec, s[62:63]
	s_cbranch_execz .LBB12_1060
; %bb.1059:                             ;   in Loop: Header=BB12_1029 Depth=2
	v_bfe_u32 v24, v0, 16, 1
	v_add3_u32 v0, v0, v24, s38
	buffer_store_dword v0, off, s[0:3], s33 offset:372 ; 4-byte Folded Spill
                                        ; implicit-def: $vgpr0
.LBB12_1060:                            ;   in Loop: Header=BB12_1029 Depth=2
	s_andn2_saveexec_b64 s[62:63], s[62:63]
	s_cbranch_execz .LBB12_1062
; %bb.1061:                             ;   in Loop: Header=BB12_1029 Depth=2
	v_or_b32_e32 v24, 0x10000, v0
	v_cmp_eq_u32_sdwa vcc, v0, v1 src0_sel:WORD_0 src1_sel:DWORD
	v_cndmask_b32_e32 v0, v24, v0, vcc
	buffer_store_dword v0, off, s[0:3], s33 offset:372 ; 4-byte Folded Spill
.LBB12_1062:                            ;   in Loop: Header=BB12_1029 Depth=2
	s_or_b64 exec, exec, s[62:63]
	buffer_load_dword v32, off, s[0:3], s33 offset:200 ; 4-byte Folded Reload
	buffer_load_dword v33, off, s[0:3], s33 offset:204 ; 4-byte Folded Reload
	buffer_load_dword v34, off, s[0:3], s33 offset:208 ; 4-byte Folded Reload
	buffer_load_dword v35, off, s[0:3], s33 offset:212 ; 4-byte Folded Reload
	v_lshlrev_b32_e32 v0, 16, v36
	s_waitcnt vmcnt(3)
	v_lshlrev_b32_e32 v24, 16, v32
	v_add_f32_e32 v0, v0, v24
	v_and_b32_e32 v24, 0x7f800000, v0
	v_cmp_ne_u32_e32 vcc, s37, v24
                                        ; implicit-def: $vgpr24
                                        ; kill: killed $vgpr24
	s_and_saveexec_b64 s[62:63], vcc
	s_xor_b64 s[62:63], exec, s[62:63]
	s_cbranch_execz .LBB12_1064
; %bb.1063:                             ;   in Loop: Header=BB12_1029 Depth=2
	v_bfe_u32 v24, v0, 16, 1
	v_add3_u32 v0, v0, v24, s38
	buffer_store_dword v0, off, s[0:3], s33 offset:380 ; 4-byte Folded Spill
                                        ; implicit-def: $vgpr0
.LBB12_1064:                            ;   in Loop: Header=BB12_1029 Depth=2
	s_andn2_saveexec_b64 s[62:63], s[62:63]
	s_cbranch_execz .LBB12_1066
; %bb.1065:                             ;   in Loop: Header=BB12_1029 Depth=2
	v_or_b32_e32 v24, 0x10000, v0
	v_cmp_eq_u32_sdwa vcc, v0, v1 src0_sel:WORD_0 src1_sel:DWORD
	v_cndmask_b32_e32 v0, v24, v0, vcc
	buffer_store_dword v0, off, s[0:3], s33 offset:380 ; 4-byte Folded Spill
.LBB12_1066:                            ;   in Loop: Header=BB12_1029 Depth=2
	s_or_b64 exec, exec, s[62:63]
	buffer_load_dword v32, off, s[0:3], s33 offset:200 ; 4-byte Folded Reload
	buffer_load_dword v33, off, s[0:3], s33 offset:204 ; 4-byte Folded Reload
	buffer_load_dword v34, off, s[0:3], s33 offset:208 ; 4-byte Folded Reload
	buffer_load_dword v35, off, s[0:3], s33 offset:212 ; 4-byte Folded Reload
	v_and_b32_e32 v0, 0xffff0000, v36
	s_waitcnt vmcnt(3)
	v_and_b32_e32 v24, 0xffff0000, v32
	v_add_f32_e32 v0, v0, v24
	v_and_b32_e32 v24, 0x7f800000, v0
	v_cmp_ne_u32_e32 vcc, s37, v24
                                        ; implicit-def: $vgpr24
                                        ; kill: killed $vgpr24
	s_and_saveexec_b64 s[62:63], vcc
	s_xor_b64 s[62:63], exec, s[62:63]
	s_cbranch_execz .LBB12_1068
; %bb.1067:                             ;   in Loop: Header=BB12_1029 Depth=2
	v_bfe_u32 v24, v0, 16, 1
	v_add3_u32 v0, v0, v24, s38
	buffer_store_dword v0, off, s[0:3], s33 offset:384 ; 4-byte Folded Spill
                                        ; implicit-def: $vgpr0
.LBB12_1068:                            ;   in Loop: Header=BB12_1029 Depth=2
	s_andn2_saveexec_b64 s[62:63], s[62:63]
	s_cbranch_execz .LBB12_1070
; %bb.1069:                             ;   in Loop: Header=BB12_1029 Depth=2
	v_or_b32_e32 v24, 0x10000, v0
	v_cmp_eq_u32_sdwa vcc, v0, v1 src0_sel:WORD_0 src1_sel:DWORD
	v_cndmask_b32_e32 v0, v24, v0, vcc
	buffer_store_dword v0, off, s[0:3], s33 offset:384 ; 4-byte Folded Spill
.LBB12_1070:                            ;   in Loop: Header=BB12_1029 Depth=2
	s_or_b64 exec, exec, s[62:63]
	buffer_load_dword v32, off, s[0:3], s33 offset:200 ; 4-byte Folded Reload
	buffer_load_dword v33, off, s[0:3], s33 offset:204 ; 4-byte Folded Reload
	;; [unrolled: 1-line block ×4, first 2 shown]
	v_lshlrev_b32_e32 v0, 16, v37
	s_waitcnt vmcnt(2)
	v_lshlrev_b32_e32 v24, 16, v33
	v_add_f32_e32 v0, v0, v24
	v_and_b32_e32 v24, 0x7f800000, v0
	v_cmp_ne_u32_e32 vcc, s37, v24
                                        ; implicit-def: $vgpr24
                                        ; kill: killed $vgpr24
	s_and_saveexec_b64 s[62:63], vcc
	s_xor_b64 s[62:63], exec, s[62:63]
	s_cbranch_execz .LBB12_1072
; %bb.1071:                             ;   in Loop: Header=BB12_1029 Depth=2
	v_bfe_u32 v24, v0, 16, 1
	v_add3_u32 v0, v0, v24, s38
	buffer_store_dword v0, off, s[0:3], s33 offset:392 ; 4-byte Folded Spill
                                        ; implicit-def: $vgpr0
.LBB12_1072:                            ;   in Loop: Header=BB12_1029 Depth=2
	s_andn2_saveexec_b64 s[62:63], s[62:63]
	s_cbranch_execz .LBB12_1074
; %bb.1073:                             ;   in Loop: Header=BB12_1029 Depth=2
	v_or_b32_e32 v24, 0x10000, v0
	v_cmp_eq_u32_sdwa vcc, v0, v1 src0_sel:WORD_0 src1_sel:DWORD
	v_cndmask_b32_e32 v0, v24, v0, vcc
	buffer_store_dword v0, off, s[0:3], s33 offset:392 ; 4-byte Folded Spill
.LBB12_1074:                            ;   in Loop: Header=BB12_1029 Depth=2
	s_or_b64 exec, exec, s[62:63]
	buffer_load_dword v32, off, s[0:3], s33 offset:200 ; 4-byte Folded Reload
	buffer_load_dword v33, off, s[0:3], s33 offset:204 ; 4-byte Folded Reload
	;; [unrolled: 1-line block ×4, first 2 shown]
	v_and_b32_e32 v0, 0xffff0000, v37
                                        ; implicit-def: $vgpr37
	s_waitcnt vmcnt(2)
	v_and_b32_e32 v24, 0xffff0000, v33
	v_add_f32_e32 v0, v0, v24
	v_and_b32_e32 v24, 0x7f800000, v0
	v_cmp_ne_u32_e32 vcc, s37, v24
	s_and_saveexec_b64 s[62:63], vcc
	s_xor_b64 s[62:63], exec, s[62:63]
; %bb.1075:                             ;   in Loop: Header=BB12_1029 Depth=2
	v_bfe_u32 v24, v0, 16, 1
	v_add3_u32 v37, v0, v24, s38
                                        ; implicit-def: $vgpr0
; %bb.1076:                             ;   in Loop: Header=BB12_1029 Depth=2
	s_andn2_saveexec_b64 s[62:63], s[62:63]
; %bb.1077:                             ;   in Loop: Header=BB12_1029 Depth=2
	v_or_b32_e32 v24, 0x10000, v0
	v_cmp_eq_u32_sdwa vcc, v0, v1 src0_sel:WORD_0 src1_sel:DWORD
	v_cndmask_b32_e32 v37, v24, v0, vcc
; %bb.1078:                             ;   in Loop: Header=BB12_1029 Depth=2
	s_or_b64 exec, exec, s[62:63]
	buffer_load_dword v32, off, s[0:3], s33 offset:200 ; 4-byte Folded Reload
	buffer_load_dword v33, off, s[0:3], s33 offset:204 ; 4-byte Folded Reload
	;; [unrolled: 1-line block ×4, first 2 shown]
	v_lshlrev_b32_e32 v0, 16, v38
	s_waitcnt vmcnt(1)
	v_lshlrev_b32_e32 v24, 16, v34
	v_add_f32_e32 v0, v0, v24
	v_and_b32_e32 v24, 0x7f800000, v0
	v_cmp_ne_u32_e32 vcc, s37, v24
                                        ; implicit-def: $vgpr24
                                        ; kill: killed $vgpr24
	s_and_saveexec_b64 s[62:63], vcc
	s_xor_b64 s[62:63], exec, s[62:63]
	s_cbranch_execz .LBB12_1080
; %bb.1079:                             ;   in Loop: Header=BB12_1029 Depth=2
	v_bfe_u32 v24, v0, 16, 1
	v_add3_u32 v0, v0, v24, s38
	buffer_store_dword v0, off, s[0:3], s33 offset:396 ; 4-byte Folded Spill
                                        ; implicit-def: $vgpr0
.LBB12_1080:                            ;   in Loop: Header=BB12_1029 Depth=2
	s_andn2_saveexec_b64 s[62:63], s[62:63]
	s_cbranch_execz .LBB12_1082
; %bb.1081:                             ;   in Loop: Header=BB12_1029 Depth=2
	v_or_b32_e32 v24, 0x10000, v0
	v_cmp_eq_u32_sdwa vcc, v0, v1 src0_sel:WORD_0 src1_sel:DWORD
	v_cndmask_b32_e32 v0, v24, v0, vcc
	buffer_store_dword v0, off, s[0:3], s33 offset:396 ; 4-byte Folded Spill
.LBB12_1082:                            ;   in Loop: Header=BB12_1029 Depth=2
	s_or_b64 exec, exec, s[62:63]
	buffer_load_dword v32, off, s[0:3], s33 offset:200 ; 4-byte Folded Reload
	buffer_load_dword v33, off, s[0:3], s33 offset:204 ; 4-byte Folded Reload
	;; [unrolled: 1-line block ×4, first 2 shown]
	v_and_b32_e32 v0, 0xffff0000, v38
                                        ; implicit-def: $vgpr38
	s_waitcnt vmcnt(1)
	v_and_b32_e32 v24, 0xffff0000, v34
	v_add_f32_e32 v0, v0, v24
	v_and_b32_e32 v24, 0x7f800000, v0
	v_cmp_ne_u32_e32 vcc, s37, v24
	s_and_saveexec_b64 s[62:63], vcc
	s_xor_b64 s[62:63], exec, s[62:63]
; %bb.1083:                             ;   in Loop: Header=BB12_1029 Depth=2
	v_bfe_u32 v24, v0, 16, 1
	v_add3_u32 v38, v0, v24, s38
                                        ; implicit-def: $vgpr0
; %bb.1084:                             ;   in Loop: Header=BB12_1029 Depth=2
	s_andn2_saveexec_b64 s[62:63], s[62:63]
; %bb.1085:                             ;   in Loop: Header=BB12_1029 Depth=2
	v_or_b32_e32 v24, 0x10000, v0
	v_cmp_eq_u32_sdwa vcc, v0, v1 src0_sel:WORD_0 src1_sel:DWORD
	v_cndmask_b32_e32 v38, v24, v0, vcc
; %bb.1086:                             ;   in Loop: Header=BB12_1029 Depth=2
	s_or_b64 exec, exec, s[62:63]
	buffer_load_dword v32, off, s[0:3], s33 offset:200 ; 4-byte Folded Reload
	buffer_load_dword v33, off, s[0:3], s33 offset:204 ; 4-byte Folded Reload
	buffer_load_dword v34, off, s[0:3], s33 offset:208 ; 4-byte Folded Reload
	buffer_load_dword v35, off, s[0:3], s33 offset:212 ; 4-byte Folded Reload
	v_lshlrev_b32_e32 v0, 16, v39
                                        ; implicit-def: $vgpr57
	s_waitcnt vmcnt(0)
	v_lshlrev_b32_e32 v24, 16, v35
	v_add_f32_e32 v0, v0, v24
	v_and_b32_e32 v24, 0x7f800000, v0
	v_cmp_ne_u32_e32 vcc, s37, v24
	s_and_saveexec_b64 s[62:63], vcc
	s_xor_b64 s[62:63], exec, s[62:63]
; %bb.1087:                             ;   in Loop: Header=BB12_1029 Depth=2
	v_bfe_u32 v24, v0, 16, 1
	v_add3_u32 v57, v0, v24, s38
                                        ; implicit-def: $vgpr0
; %bb.1088:                             ;   in Loop: Header=BB12_1029 Depth=2
	s_andn2_saveexec_b64 s[62:63], s[62:63]
; %bb.1089:                             ;   in Loop: Header=BB12_1029 Depth=2
	v_or_b32_e32 v24, 0x10000, v0
	v_cmp_eq_u32_sdwa vcc, v0, v1 src0_sel:WORD_0 src1_sel:DWORD
	v_cndmask_b32_e32 v57, v24, v0, vcc
; %bb.1090:                             ;   in Loop: Header=BB12_1029 Depth=2
	s_or_b64 exec, exec, s[62:63]
	buffer_load_dword v32, off, s[0:3], s33 offset:200 ; 4-byte Folded Reload
	buffer_load_dword v33, off, s[0:3], s33 offset:204 ; 4-byte Folded Reload
	;; [unrolled: 1-line block ×4, first 2 shown]
	v_and_b32_e32 v0, 0xffff0000, v39
                                        ; implicit-def: $vgpr39
	s_waitcnt vmcnt(0)
	v_and_b32_e32 v24, 0xffff0000, v35
	v_add_f32_e32 v0, v0, v24
	v_and_b32_e32 v24, 0x7f800000, v0
	v_cmp_ne_u32_e32 vcc, s37, v24
	s_and_saveexec_b64 s[62:63], vcc
	s_xor_b64 s[62:63], exec, s[62:63]
; %bb.1091:                             ;   in Loop: Header=BB12_1029 Depth=2
	v_bfe_u32 v24, v0, 16, 1
	v_add3_u32 v39, v0, v24, s38
                                        ; implicit-def: $vgpr0
; %bb.1092:                             ;   in Loop: Header=BB12_1029 Depth=2
	s_andn2_saveexec_b64 s[62:63], s[62:63]
; %bb.1093:                             ;   in Loop: Header=BB12_1029 Depth=2
	v_or_b32_e32 v24, 0x10000, v0
	v_cmp_eq_u32_sdwa vcc, v0, v1 src0_sel:WORD_0 src1_sel:DWORD
	v_cndmask_b32_e32 v39, v24, v0, vcc
; %bb.1094:                             ;   in Loop: Header=BB12_1029 Depth=2
	s_or_b64 exec, exec, s[62:63]
	buffer_load_dword v32, off, s[0:3], s33 offset:184 ; 4-byte Folded Reload
	buffer_load_dword v33, off, s[0:3], s33 offset:188 ; 4-byte Folded Reload
	;; [unrolled: 1-line block ×4, first 2 shown]
	v_lshlrev_b32_e32 v0, 16, v26
                                        ; implicit-def: $vgpr58
	s_waitcnt vmcnt(3)
	v_lshlrev_b32_e32 v24, 16, v32
	v_add_f32_e32 v0, v0, v24
	v_and_b32_e32 v24, 0x7f800000, v0
	v_cmp_ne_u32_e32 vcc, s37, v24
	s_and_saveexec_b64 s[62:63], vcc
	s_xor_b64 s[62:63], exec, s[62:63]
; %bb.1095:                             ;   in Loop: Header=BB12_1029 Depth=2
	v_bfe_u32 v24, v0, 16, 1
	v_add3_u32 v58, v0, v24, s38
                                        ; implicit-def: $vgpr0
; %bb.1096:                             ;   in Loop: Header=BB12_1029 Depth=2
	s_andn2_saveexec_b64 s[62:63], s[62:63]
; %bb.1097:                             ;   in Loop: Header=BB12_1029 Depth=2
	v_or_b32_e32 v24, 0x10000, v0
	v_cmp_eq_u32_sdwa vcc, v0, v1 src0_sel:WORD_0 src1_sel:DWORD
	v_cndmask_b32_e32 v58, v24, v0, vcc
; %bb.1098:                             ;   in Loop: Header=BB12_1029 Depth=2
	s_or_b64 exec, exec, s[62:63]
	buffer_load_dword v32, off, s[0:3], s33 offset:184 ; 4-byte Folded Reload
	buffer_load_dword v33, off, s[0:3], s33 offset:188 ; 4-byte Folded Reload
	;; [unrolled: 1-line block ×4, first 2 shown]
	v_and_b32_e32 v0, 0xffff0000, v26
                                        ; implicit-def: $vgpr26
	s_waitcnt vmcnt(3)
	v_and_b32_e32 v24, 0xffff0000, v32
	v_add_f32_e32 v0, v0, v24
	v_and_b32_e32 v24, 0x7f800000, v0
	v_cmp_ne_u32_e32 vcc, s37, v24
	s_and_saveexec_b64 s[62:63], vcc
	s_xor_b64 s[62:63], exec, s[62:63]
; %bb.1099:                             ;   in Loop: Header=BB12_1029 Depth=2
	v_bfe_u32 v24, v0, 16, 1
	v_add3_u32 v26, v0, v24, s38
                                        ; implicit-def: $vgpr0
; %bb.1100:                             ;   in Loop: Header=BB12_1029 Depth=2
	s_andn2_saveexec_b64 s[62:63], s[62:63]
; %bb.1101:                             ;   in Loop: Header=BB12_1029 Depth=2
	v_or_b32_e32 v24, 0x10000, v0
	v_cmp_eq_u32_sdwa vcc, v0, v1 src0_sel:WORD_0 src1_sel:DWORD
	v_cndmask_b32_e32 v26, v24, v0, vcc
; %bb.1102:                             ;   in Loop: Header=BB12_1029 Depth=2
	s_or_b64 exec, exec, s[62:63]
	buffer_load_dword v32, off, s[0:3], s33 offset:184 ; 4-byte Folded Reload
	buffer_load_dword v33, off, s[0:3], s33 offset:188 ; 4-byte Folded Reload
	;; [unrolled: 1-line block ×4, first 2 shown]
	v_lshlrev_b32_e32 v0, 16, v27
                                        ; implicit-def: $vgpr25
	s_waitcnt vmcnt(2)
	v_lshlrev_b32_e32 v24, 16, v33
	v_add_f32_e32 v0, v0, v24
	v_and_b32_e32 v24, 0x7f800000, v0
	v_cmp_ne_u32_e32 vcc, s37, v24
	s_and_saveexec_b64 s[62:63], vcc
	s_xor_b64 s[62:63], exec, s[62:63]
; %bb.1103:                             ;   in Loop: Header=BB12_1029 Depth=2
	v_bfe_u32 v24, v0, 16, 1
	v_add3_u32 v25, v0, v24, s38
                                        ; implicit-def: $vgpr0
; %bb.1104:                             ;   in Loop: Header=BB12_1029 Depth=2
	s_andn2_saveexec_b64 s[62:63], s[62:63]
; %bb.1105:                             ;   in Loop: Header=BB12_1029 Depth=2
	v_or_b32_e32 v24, 0x10000, v0
	v_cmp_eq_u32_sdwa vcc, v0, v1 src0_sel:WORD_0 src1_sel:DWORD
	v_cndmask_b32_e32 v25, v24, v0, vcc
; %bb.1106:                             ;   in Loop: Header=BB12_1029 Depth=2
	s_or_b64 exec, exec, s[62:63]
	buffer_load_dword v32, off, s[0:3], s33 offset:184 ; 4-byte Folded Reload
	buffer_load_dword v33, off, s[0:3], s33 offset:188 ; 4-byte Folded Reload
	;; [unrolled: 1-line block ×4, first 2 shown]
	v_and_b32_e32 v0, 0xffff0000, v27
                                        ; implicit-def: $vgpr27
	s_waitcnt vmcnt(2)
	v_and_b32_e32 v24, 0xffff0000, v33
	v_add_f32_e32 v0, v0, v24
	v_and_b32_e32 v24, 0x7f800000, v0
	v_cmp_ne_u32_e32 vcc, s37, v24
	s_and_saveexec_b64 s[62:63], vcc
	s_xor_b64 s[62:63], exec, s[62:63]
; %bb.1107:                             ;   in Loop: Header=BB12_1029 Depth=2
	v_bfe_u32 v24, v0, 16, 1
	v_add3_u32 v27, v0, v24, s38
                                        ; implicit-def: $vgpr0
; %bb.1108:                             ;   in Loop: Header=BB12_1029 Depth=2
	s_andn2_saveexec_b64 s[62:63], s[62:63]
; %bb.1109:                             ;   in Loop: Header=BB12_1029 Depth=2
	v_or_b32_e32 v24, 0x10000, v0
	v_cmp_eq_u32_sdwa vcc, v0, v1 src0_sel:WORD_0 src1_sel:DWORD
	v_cndmask_b32_e32 v27, v24, v0, vcc
; %bb.1110:                             ;   in Loop: Header=BB12_1029 Depth=2
	s_or_b64 exec, exec, s[62:63]
	buffer_load_dword v32, off, s[0:3], s33 offset:184 ; 4-byte Folded Reload
	buffer_load_dword v33, off, s[0:3], s33 offset:188 ; 4-byte Folded Reload
	;; [unrolled: 1-line block ×4, first 2 shown]
	v_lshlrev_b32_e32 v0, 16, v28
                                        ; implicit-def: $vgpr59
	s_waitcnt vmcnt(1)
	v_lshlrev_b32_e32 v24, 16, v34
	v_add_f32_e32 v0, v0, v24
	v_and_b32_e32 v24, 0x7f800000, v0
	v_cmp_ne_u32_e32 vcc, s37, v24
	s_and_saveexec_b64 s[62:63], vcc
	s_xor_b64 s[62:63], exec, s[62:63]
; %bb.1111:                             ;   in Loop: Header=BB12_1029 Depth=2
	v_bfe_u32 v24, v0, 16, 1
	v_add3_u32 v59, v0, v24, s38
                                        ; implicit-def: $vgpr0
; %bb.1112:                             ;   in Loop: Header=BB12_1029 Depth=2
	s_andn2_saveexec_b64 s[62:63], s[62:63]
; %bb.1113:                             ;   in Loop: Header=BB12_1029 Depth=2
	v_or_b32_e32 v24, 0x10000, v0
	v_cmp_eq_u32_sdwa vcc, v0, v1 src0_sel:WORD_0 src1_sel:DWORD
	v_cndmask_b32_e32 v59, v24, v0, vcc
; %bb.1114:                             ;   in Loop: Header=BB12_1029 Depth=2
	s_or_b64 exec, exec, s[62:63]
	buffer_load_dword v32, off, s[0:3], s33 offset:184 ; 4-byte Folded Reload
	buffer_load_dword v33, off, s[0:3], s33 offset:188 ; 4-byte Folded Reload
	;; [unrolled: 1-line block ×4, first 2 shown]
	v_and_b32_e32 v0, 0xffff0000, v28
                                        ; implicit-def: $vgpr28
	s_waitcnt vmcnt(1)
	v_and_b32_e32 v24, 0xffff0000, v34
	v_add_f32_e32 v0, v0, v24
	v_and_b32_e32 v24, 0x7f800000, v0
	v_cmp_ne_u32_e32 vcc, s37, v24
	s_and_saveexec_b64 s[62:63], vcc
	s_xor_b64 s[62:63], exec, s[62:63]
; %bb.1115:                             ;   in Loop: Header=BB12_1029 Depth=2
	v_bfe_u32 v24, v0, 16, 1
	v_add3_u32 v28, v0, v24, s38
                                        ; implicit-def: $vgpr0
; %bb.1116:                             ;   in Loop: Header=BB12_1029 Depth=2
	s_andn2_saveexec_b64 s[62:63], s[62:63]
; %bb.1117:                             ;   in Loop: Header=BB12_1029 Depth=2
	v_or_b32_e32 v24, 0x10000, v0
	v_cmp_eq_u32_sdwa vcc, v0, v1 src0_sel:WORD_0 src1_sel:DWORD
	v_cndmask_b32_e32 v28, v24, v0, vcc
; %bb.1118:                             ;   in Loop: Header=BB12_1029 Depth=2
	s_or_b64 exec, exec, s[62:63]
	buffer_load_dword v32, off, s[0:3], s33 offset:184 ; 4-byte Folded Reload
	buffer_load_dword v33, off, s[0:3], s33 offset:188 ; 4-byte Folded Reload
	buffer_load_dword v34, off, s[0:3], s33 offset:192 ; 4-byte Folded Reload
	buffer_load_dword v35, off, s[0:3], s33 offset:196 ; 4-byte Folded Reload
	v_lshlrev_b32_e32 v0, 16, v29
                                        ; implicit-def: $vgpr56
	s_waitcnt vmcnt(0)
	v_lshlrev_b32_e32 v24, 16, v35
	v_add_f32_e32 v0, v0, v24
	v_and_b32_e32 v24, 0x7f800000, v0
	v_cmp_ne_u32_e32 vcc, s37, v24
	s_and_saveexec_b64 s[62:63], vcc
	s_xor_b64 s[62:63], exec, s[62:63]
; %bb.1119:                             ;   in Loop: Header=BB12_1029 Depth=2
	v_bfe_u32 v24, v0, 16, 1
	v_add3_u32 v56, v0, v24, s38
                                        ; implicit-def: $vgpr0
; %bb.1120:                             ;   in Loop: Header=BB12_1029 Depth=2
	s_andn2_saveexec_b64 s[62:63], s[62:63]
; %bb.1121:                             ;   in Loop: Header=BB12_1029 Depth=2
	v_or_b32_e32 v24, 0x10000, v0
	v_cmp_eq_u32_sdwa vcc, v0, v1 src0_sel:WORD_0 src1_sel:DWORD
	v_cndmask_b32_e32 v56, v24, v0, vcc
; %bb.1122:                             ;   in Loop: Header=BB12_1029 Depth=2
	s_or_b64 exec, exec, s[62:63]
	buffer_load_dword v32, off, s[0:3], s33 offset:184 ; 4-byte Folded Reload
	buffer_load_dword v33, off, s[0:3], s33 offset:188 ; 4-byte Folded Reload
	;; [unrolled: 1-line block ×4, first 2 shown]
	v_and_b32_e32 v0, 0xffff0000, v29
                                        ; implicit-def: $vgpr29
	s_waitcnt vmcnt(0)
	v_and_b32_e32 v24, 0xffff0000, v35
	v_add_f32_e32 v0, v0, v24
	v_and_b32_e32 v24, 0x7f800000, v0
	v_cmp_ne_u32_e32 vcc, s37, v24
	s_and_saveexec_b64 s[62:63], vcc
	s_xor_b64 s[62:63], exec, s[62:63]
; %bb.1123:                             ;   in Loop: Header=BB12_1029 Depth=2
	v_bfe_u32 v24, v0, 16, 1
	v_add3_u32 v29, v0, v24, s38
                                        ; implicit-def: $vgpr0
; %bb.1124:                             ;   in Loop: Header=BB12_1029 Depth=2
	s_andn2_saveexec_b64 s[62:63], s[62:63]
; %bb.1125:                             ;   in Loop: Header=BB12_1029 Depth=2
	v_or_b32_e32 v24, 0x10000, v0
	v_cmp_eq_u32_sdwa vcc, v0, v1 src0_sel:WORD_0 src1_sel:DWORD
	v_cndmask_b32_e32 v29, v24, v0, vcc
; %bb.1126:                             ;   in Loop: Header=BB12_1029 Depth=2
	s_or_b64 exec, exec, s[62:63]
	buffer_load_dword v32, off, s[0:3], s33 offset:168 ; 4-byte Folded Reload
	buffer_load_dword v33, off, s[0:3], s33 offset:172 ; 4-byte Folded Reload
	;; [unrolled: 1-line block ×4, first 2 shown]
	v_lshlrev_b32_e32 v0, 16, v14
	s_waitcnt vmcnt(3)
	v_lshlrev_b32_e32 v24, 16, v32
	v_add_f32_e32 v0, v0, v24
	v_and_b32_e32 v24, 0x7f800000, v0
	v_cmp_ne_u32_e32 vcc, s37, v24
                                        ; implicit-def: $vgpr24
	s_and_saveexec_b64 s[62:63], vcc
	s_xor_b64 s[62:63], exec, s[62:63]
; %bb.1127:                             ;   in Loop: Header=BB12_1029 Depth=2
	v_bfe_u32 v24, v0, 16, 1
	v_add3_u32 v24, v0, v24, s38
                                        ; implicit-def: $vgpr0
; %bb.1128:                             ;   in Loop: Header=BB12_1029 Depth=2
	s_andn2_saveexec_b64 s[62:63], s[62:63]
; %bb.1129:                             ;   in Loop: Header=BB12_1029 Depth=2
	v_or_b32_e32 v24, 0x10000, v0
	v_cmp_eq_u32_sdwa vcc, v0, v1 src0_sel:WORD_0 src1_sel:DWORD
	v_cndmask_b32_e32 v24, v24, v0, vcc
; %bb.1130:                             ;   in Loop: Header=BB12_1029 Depth=2
	s_or_b64 exec, exec, s[62:63]
	buffer_load_dword v32, off, s[0:3], s33 offset:168 ; 4-byte Folded Reload
	buffer_load_dword v33, off, s[0:3], s33 offset:172 ; 4-byte Folded Reload
	;; [unrolled: 1-line block ×4, first 2 shown]
	v_and_b32_e32 v0, 0xffff0000, v14
	s_waitcnt vmcnt(3)
	v_and_b32_e32 v14, 0xffff0000, v32
	v_add_f32_e32 v0, v0, v14
	v_and_b32_e32 v14, 0x7f800000, v0
	v_cmp_ne_u32_e32 vcc, s37, v14
                                        ; implicit-def: $vgpr14
	s_and_saveexec_b64 s[62:63], vcc
	s_xor_b64 s[62:63], exec, s[62:63]
; %bb.1131:                             ;   in Loop: Header=BB12_1029 Depth=2
	v_bfe_u32 v14, v0, 16, 1
	v_add3_u32 v14, v0, v14, s38
                                        ; implicit-def: $vgpr0
; %bb.1132:                             ;   in Loop: Header=BB12_1029 Depth=2
	s_andn2_saveexec_b64 s[62:63], s[62:63]
; %bb.1133:                             ;   in Loop: Header=BB12_1029 Depth=2
	v_or_b32_e32 v14, 0x10000, v0
	v_cmp_eq_u32_sdwa vcc, v0, v1 src0_sel:WORD_0 src1_sel:DWORD
	v_cndmask_b32_e32 v14, v14, v0, vcc
; %bb.1134:                             ;   in Loop: Header=BB12_1029 Depth=2
	s_or_b64 exec, exec, s[62:63]
	buffer_load_dword v32, off, s[0:3], s33 offset:168 ; 4-byte Folded Reload
	buffer_load_dword v33, off, s[0:3], s33 offset:172 ; 4-byte Folded Reload
	;; [unrolled: 1-line block ×4, first 2 shown]
	v_lshlrev_b32_e32 v0, 16, v15
	s_waitcnt vmcnt(2)
	v_lshlrev_b32_e32 v32, 16, v33
	v_add_f32_e32 v32, v0, v32
	v_and_b32_e32 v0, 0x7f800000, v32
	v_cmp_ne_u32_e32 vcc, s37, v0
                                        ; implicit-def: $vgpr0
	s_and_saveexec_b64 s[62:63], vcc
	s_xor_b64 s[62:63], exec, s[62:63]
; %bb.1135:                             ;   in Loop: Header=BB12_1029 Depth=2
	v_bfe_u32 v0, v32, 16, 1
	v_add3_u32 v0, v32, v0, s38
                                        ; implicit-def: $vgpr32
; %bb.1136:                             ;   in Loop: Header=BB12_1029 Depth=2
	s_andn2_saveexec_b64 s[62:63], s[62:63]
; %bb.1137:                             ;   in Loop: Header=BB12_1029 Depth=2
	v_or_b32_e32 v0, 0x10000, v32
	v_cmp_eq_u32_sdwa vcc, v32, v1 src0_sel:WORD_0 src1_sel:DWORD
	v_cndmask_b32_e32 v0, v0, v32, vcc
; %bb.1138:                             ;   in Loop: Header=BB12_1029 Depth=2
	s_or_b64 exec, exec, s[62:63]
	buffer_load_dword v32, off, s[0:3], s33 offset:168 ; 4-byte Folded Reload
	buffer_load_dword v33, off, s[0:3], s33 offset:172 ; 4-byte Folded Reload
	;; [unrolled: 1-line block ×4, first 2 shown]
	v_and_b32_e32 v15, 0xffff0000, v15
	s_waitcnt vmcnt(2)
	v_and_b32_e32 v32, 0xffff0000, v33
	v_add_f32_e32 v32, v15, v32
	v_and_b32_e32 v15, 0x7f800000, v32
	v_cmp_ne_u32_e32 vcc, s37, v15
                                        ; implicit-def: $vgpr15
	s_and_saveexec_b64 s[62:63], vcc
	s_xor_b64 s[62:63], exec, s[62:63]
; %bb.1139:                             ;   in Loop: Header=BB12_1029 Depth=2
	v_bfe_u32 v15, v32, 16, 1
	v_add3_u32 v15, v32, v15, s38
                                        ; implicit-def: $vgpr32
; %bb.1140:                             ;   in Loop: Header=BB12_1029 Depth=2
	s_andn2_saveexec_b64 s[62:63], s[62:63]
; %bb.1141:                             ;   in Loop: Header=BB12_1029 Depth=2
	v_or_b32_e32 v15, 0x10000, v32
	v_cmp_eq_u32_sdwa vcc, v32, v1 src0_sel:WORD_0 src1_sel:DWORD
	v_cndmask_b32_e32 v15, v15, v32, vcc
; %bb.1142:                             ;   in Loop: Header=BB12_1029 Depth=2
	s_or_b64 exec, exec, s[62:63]
	buffer_load_dword v33, off, s[0:3], s33 offset:168 ; 4-byte Folded Reload
	buffer_load_dword v34, off, s[0:3], s33 offset:172 ; 4-byte Folded Reload
	;; [unrolled: 1-line block ×4, first 2 shown]
	v_lshlrev_b32_e32 v32, 16, v16
                                        ; implicit-def: $vgpr62
	s_waitcnt vmcnt(1)
	v_lshlrev_b32_e32 v33, 16, v35
	v_add_f32_e32 v32, v32, v33
	v_and_b32_e32 v33, 0x7f800000, v32
	v_cmp_ne_u32_e32 vcc, s37, v33
	s_and_saveexec_b64 s[62:63], vcc
	s_xor_b64 s[62:63], exec, s[62:63]
; %bb.1143:                             ;   in Loop: Header=BB12_1029 Depth=2
	v_bfe_u32 v33, v32, 16, 1
	v_add3_u32 v62, v32, v33, s38
                                        ; implicit-def: $vgpr32
; %bb.1144:                             ;   in Loop: Header=BB12_1029 Depth=2
	s_andn2_saveexec_b64 s[62:63], s[62:63]
; %bb.1145:                             ;   in Loop: Header=BB12_1029 Depth=2
	v_or_b32_e32 v33, 0x10000, v32
	v_cmp_eq_u32_sdwa vcc, v32, v1 src0_sel:WORD_0 src1_sel:DWORD
	v_cndmask_b32_e32 v62, v33, v32, vcc
; %bb.1146:                             ;   in Loop: Header=BB12_1029 Depth=2
	s_or_b64 exec, exec, s[62:63]
	buffer_load_dword v32, off, s[0:3], s33 offset:168 ; 4-byte Folded Reload
	buffer_load_dword v33, off, s[0:3], s33 offset:172 ; 4-byte Folded Reload
	;; [unrolled: 1-line block ×4, first 2 shown]
	v_and_b32_e32 v16, 0xffff0000, v16
	s_waitcnt vmcnt(1)
	v_and_b32_e32 v32, 0xffff0000, v34
	v_add_f32_e32 v32, v16, v32
	v_and_b32_e32 v16, 0x7f800000, v32
	v_cmp_ne_u32_e32 vcc, s37, v16
                                        ; implicit-def: $vgpr16
	s_and_saveexec_b64 s[62:63], vcc
	s_xor_b64 s[62:63], exec, s[62:63]
; %bb.1147:                             ;   in Loop: Header=BB12_1029 Depth=2
	v_bfe_u32 v16, v32, 16, 1
	v_add3_u32 v16, v32, v16, s38
                                        ; implicit-def: $vgpr32
; %bb.1148:                             ;   in Loop: Header=BB12_1029 Depth=2
	s_andn2_saveexec_b64 s[62:63], s[62:63]
; %bb.1149:                             ;   in Loop: Header=BB12_1029 Depth=2
	v_or_b32_e32 v16, 0x10000, v32
	v_cmp_eq_u32_sdwa vcc, v32, v1 src0_sel:WORD_0 src1_sel:DWORD
	v_cndmask_b32_e32 v16, v16, v32, vcc
; %bb.1150:                             ;   in Loop: Header=BB12_1029 Depth=2
	s_or_b64 exec, exec, s[62:63]
	buffer_load_dword v33, off, s[0:3], s33 offset:168 ; 4-byte Folded Reload
	buffer_load_dword v34, off, s[0:3], s33 offset:172 ; 4-byte Folded Reload
	;; [unrolled: 1-line block ×4, first 2 shown]
	v_lshlrev_b32_e32 v32, 16, v17
	s_waitcnt vmcnt(0)
	v_lshlrev_b32_e32 v33, 16, v36
	v_add_f32_e32 v33, v32, v33
	v_and_b32_e32 v32, 0x7f800000, v33
	v_cmp_ne_u32_e32 vcc, s37, v32
                                        ; implicit-def: $vgpr32
	s_and_saveexec_b64 s[62:63], vcc
	s_xor_b64 s[62:63], exec, s[62:63]
; %bb.1151:                             ;   in Loop: Header=BB12_1029 Depth=2
	v_bfe_u32 v32, v33, 16, 1
	v_add3_u32 v32, v33, v32, s38
                                        ; implicit-def: $vgpr33
; %bb.1152:                             ;   in Loop: Header=BB12_1029 Depth=2
	s_andn2_saveexec_b64 s[62:63], s[62:63]
; %bb.1153:                             ;   in Loop: Header=BB12_1029 Depth=2
	v_or_b32_e32 v32, 0x10000, v33
	v_cmp_eq_u32_sdwa vcc, v33, v1 src0_sel:WORD_0 src1_sel:DWORD
	v_cndmask_b32_e32 v32, v32, v33, vcc
; %bb.1154:                             ;   in Loop: Header=BB12_1029 Depth=2
	s_or_b64 exec, exec, s[62:63]
	buffer_load_dword v33, off, s[0:3], s33 offset:168 ; 4-byte Folded Reload
	buffer_load_dword v34, off, s[0:3], s33 offset:172 ; 4-byte Folded Reload
	;; [unrolled: 1-line block ×4, first 2 shown]
	v_and_b32_e32 v17, 0xffff0000, v17
	s_waitcnt vmcnt(0)
	v_and_b32_e32 v33, 0xffff0000, v36
	v_add_f32_e32 v33, v17, v33
	v_and_b32_e32 v17, 0x7f800000, v33
	v_cmp_ne_u32_e32 vcc, s37, v17
                                        ; implicit-def: $vgpr17
	s_and_saveexec_b64 s[62:63], vcc
	s_xor_b64 s[62:63], exec, s[62:63]
; %bb.1155:                             ;   in Loop: Header=BB12_1029 Depth=2
	v_bfe_u32 v17, v33, 16, 1
	v_add3_u32 v17, v33, v17, s38
                                        ; implicit-def: $vgpr33
; %bb.1156:                             ;   in Loop: Header=BB12_1029 Depth=2
	s_andn2_saveexec_b64 s[62:63], s[62:63]
; %bb.1157:                             ;   in Loop: Header=BB12_1029 Depth=2
	v_or_b32_e32 v17, 0x10000, v33
	v_cmp_eq_u32_sdwa vcc, v33, v1 src0_sel:WORD_0 src1_sel:DWORD
	v_cndmask_b32_e32 v17, v17, v33, vcc
; %bb.1158:                             ;   in Loop: Header=BB12_1029 Depth=2
	s_or_b64 exec, exec, s[62:63]
	v_lshrrev_b32_e32 v25, 16, v25
	v_and_or_b32 v27, v27, s39, v25
	v_lshrrev_b32_e32 v25, 16, v58
	v_and_or_b32 v26, v26, s39, v25
	;; [unrolled: 2-line block ×4, first 2 shown]
	buffer_load_dword v25, off, s[0:3], s33 offset:392 ; 4-byte Folded Reload
	v_lshrrev_b32_e32 v0, 16, v0
	v_and_or_b32 v15, v15, s39, v0
	v_lshrrev_b32_e32 v0, 16, v24
	v_and_or_b32 v14, v14, s39, v0
	v_lshrrev_b32_e32 v0, 16, v62
	v_and_or_b32 v16, v16, s39, v0
	v_lshrrev_b32_e32 v0, 16, v32
	v_and_or_b32 v17, v17, s39, v0
	buffer_load_dword v33, off, s[0:3], s33 offset:384 ; 4-byte Folded Reload
	s_waitcnt vmcnt(1)
	v_lshrrev_b32_e32 v25, 16, v25
	v_and_or_b32 v37, v37, s39, v25
	buffer_load_dword v25, off, s[0:3], s33 offset:380 ; 4-byte Folded Reload
	s_waitcnt vmcnt(0)
	v_lshrrev_b32_e32 v25, 16, v25
	v_and_or_b32 v36, v33, s39, v25
	buffer_load_dword v25, off, s[0:3], s33 offset:396 ; 4-byte Folded Reload
	buffer_load_dword v33, off, s[0:3], s33 offset:344 ; 4-byte Folded Reload
	s_waitcnt vmcnt(1)
	v_lshrrev_b32_e32 v25, 16, v25
	v_and_or_b32 v38, v38, s39, v25
	v_lshrrev_b32_e32 v25, 16, v57
	v_and_or_b32 v39, v39, s39, v25
	buffer_load_dword v25, off, s[0:3], s33 offset:340 ; 4-byte Folded Reload
	s_waitcnt vmcnt(0)
	v_lshrrev_b32_e32 v25, 16, v25
	v_and_or_b32 v57, v33, s39, v25
	buffer_load_dword v25, off, s[0:3], s33 offset:328 ; 4-byte Folded Reload
	buffer_load_dword v33, off, s[0:3], s33 offset:332 ; 4-byte Folded Reload
	s_waitcnt vmcnt(1)
	v_lshrrev_b32_e32 v25, 16, v25
	s_waitcnt vmcnt(0)
	v_and_or_b32 v56, v33, s39, v25
	buffer_load_dword v25, off, s[0:3], s33 offset:348 ; 4-byte Folded Reload
	buffer_load_dword v33, off, s[0:3], s33 offset:356 ; 4-byte Folded Reload
	s_waitcnt vmcnt(1)
	v_lshrrev_b32_e32 v25, 16, v25
	s_waitcnt vmcnt(0)
	;; [unrolled: 6-line block ×3, first 2 shown]
	v_and_or_b32 v59, v33, s39, v25
	global_store_dwordx4 v[30:31], v[56:59], off glc slc
	global_store_dwordx4 v[30:31], v[36:39], off offset:1024 glc slc
	global_store_dwordx4 v[30:31], v[26:29], off offset:2048 glc slc
	global_store_dwordx4 v[30:31], v[14:17], off offset:3072 glc slc
	buffer_load_dword v0, off, s[0:3], s33 offset:304 ; 4-byte Folded Reload
	s_waitcnt vmcnt(0)
	v_add_co_u32_e32 v30, vcc, v30, v0
	buffer_load_dword v0, off, s[0:3], s33 offset:312 ; 4-byte Folded Reload
	s_waitcnt vmcnt(0)
	v_addc_co_u32_e32 v31, vcc, v31, v0, vcc
.LBB12_1159:                            ;   in Loop: Header=BB12_1029 Depth=2
	s_or_b64 exec, exec, s[72:73]
	buffer_load_dword v0, off, s[0:3], s33 offset:304 ; 4-byte Folded Reload
	buffer_load_dword v24, off, s[0:3], s33 offset:312 ; 4-byte Folded Reload
	s_waitcnt vmcnt(1)
	v_add_co_u32_e32 v22, vcc, v22, v0
	s_waitcnt vmcnt(0)
	v_addc_co_u32_e32 v23, vcc, v23, v24, vcc
	v_add_co_u32_e32 v60, vcc, v60, v0
	v_addc_co_u32_e32 v61, vcc, v61, v24, vcc
	buffer_load_dword v0, off, s[0:3], s33 offset:232 ; 4-byte Folded Reload
	buffer_load_dword v24, off, s[0:3], s33 offset:248 ; 4-byte Folded Reload
	s_waitcnt vmcnt(0)
	v_sub_u32_e32 v24, v24, v0
	v_cmp_lt_i32_e64 s[62:63], 0, v24
	buffer_store_dword v24, off, s[0:3], s33 offset:248 ; 4-byte Folded Spill
	s_and_saveexec_b64 s[72:73], s[62:63]
	s_cbranch_execz .LBB12_1161
; %bb.1160:                             ;   in Loop: Header=BB12_1029 Depth=2
	global_load_dwordx4 v[56:59], v[22:23], off glc slc
	global_load_dwordx4 v[36:39], v[22:23], off offset:1024 glc slc
	global_load_dwordx4 v[26:29], v[22:23], off offset:2048 glc slc
	;; [unrolled: 1-line block ×3, first 2 shown]
	global_load_dwordx4 v[32:35], v[60:61], off glc slc
	v_add_co_u32_e32 v22, vcc, s95, v22
	v_addc_co_u32_e32 v23, vcc, 0, v23, vcc
	s_waitcnt vmcnt(0)
	buffer_store_dword v32, off, s[0:3], s33 offset:216 ; 4-byte Folded Spill
	s_nop 0
	buffer_store_dword v33, off, s[0:3], s33 offset:220 ; 4-byte Folded Spill
	buffer_store_dword v34, off, s[0:3], s33 offset:224 ; 4-byte Folded Spill
	buffer_store_dword v35, off, s[0:3], s33 offset:228 ; 4-byte Folded Spill
	global_load_dwordx4 v[32:35], v[60:61], off offset:1024 glc slc
	s_waitcnt vmcnt(0)
	buffer_store_dword v32, off, s[0:3], s33 offset:200 ; 4-byte Folded Spill
	s_nop 0
	buffer_store_dword v33, off, s[0:3], s33 offset:204 ; 4-byte Folded Spill
	buffer_store_dword v34, off, s[0:3], s33 offset:208 ; 4-byte Folded Spill
	buffer_store_dword v35, off, s[0:3], s33 offset:212 ; 4-byte Folded Spill
	global_load_dwordx4 v[32:35], v[60:61], off offset:2048 glc slc
	;; [unrolled: 7-line block ×3, first 2 shown]
	v_add_co_u32_e32 v60, vcc, 0x1000, v60
	v_addc_co_u32_e32 v61, vcc, 0, v61, vcc
	s_waitcnt vmcnt(0)
	buffer_store_dword v32, off, s[0:3], s33 offset:168 ; 4-byte Folded Spill
	s_nop 0
	buffer_store_dword v33, off, s[0:3], s33 offset:172 ; 4-byte Folded Spill
	buffer_store_dword v34, off, s[0:3], s33 offset:176 ; 4-byte Folded Spill
	;; [unrolled: 1-line block ×3, first 2 shown]
.LBB12_1161:                            ;   in Loop: Header=BB12_1029 Depth=2
	s_or_b64 exec, exec, s[72:73]
	v_lshlrev_b32_e32 v0, 16, v10
	v_lshlrev_b32_e32 v24, 16, v18
	v_add_f32_e32 v0, v0, v24
	v_and_b32_e32 v24, 0x7f800000, v0
	v_cmp_ne_u32_e32 vcc, s37, v24
                                        ; implicit-def: $vgpr25
	s_and_saveexec_b64 s[72:73], vcc
	s_xor_b64 s[72:73], exec, s[72:73]
; %bb.1162:                             ;   in Loop: Header=BB12_1029 Depth=2
	v_bfe_u32 v24, v0, 16, 1
	v_add3_u32 v25, v0, v24, s38
                                        ; implicit-def: $vgpr0
; %bb.1163:                             ;   in Loop: Header=BB12_1029 Depth=2
	s_andn2_saveexec_b64 s[72:73], s[72:73]
; %bb.1164:                             ;   in Loop: Header=BB12_1029 Depth=2
	v_or_b32_e32 v24, 0x10000, v0
	v_cmp_eq_u32_sdwa vcc, v0, v1 src0_sel:WORD_0 src1_sel:DWORD
	v_cndmask_b32_e32 v25, v24, v0, vcc
; %bb.1165:                             ;   in Loop: Header=BB12_1029 Depth=2
	s_or_b64 exec, exec, s[72:73]
	v_and_b32_e32 v0, 0xffff0000, v10
	v_and_b32_e32 v10, 0xffff0000, v18
	v_add_f32_e32 v0, v0, v10
	v_and_b32_e32 v10, 0x7f800000, v0
	v_cmp_ne_u32_e32 vcc, s37, v10
                                        ; implicit-def: $vgpr10
	s_and_saveexec_b64 s[72:73], vcc
	s_xor_b64 s[72:73], exec, s[72:73]
; %bb.1166:                             ;   in Loop: Header=BB12_1029 Depth=2
	v_bfe_u32 v10, v0, 16, 1
	v_add3_u32 v10, v0, v10, s38
                                        ; implicit-def: $vgpr0
; %bb.1167:                             ;   in Loop: Header=BB12_1029 Depth=2
	s_andn2_saveexec_b64 s[72:73], s[72:73]
; %bb.1168:                             ;   in Loop: Header=BB12_1029 Depth=2
	v_or_b32_e32 v10, 0x10000, v0
	v_cmp_eq_u32_sdwa vcc, v0, v1 src0_sel:WORD_0 src1_sel:DWORD
	v_cndmask_b32_e32 v10, v10, v0, vcc
; %bb.1169:                             ;   in Loop: Header=BB12_1029 Depth=2
	s_or_b64 exec, exec, s[72:73]
	v_lshlrev_b32_e32 v0, 16, v11
	v_lshlrev_b32_e32 v18, 16, v19
	v_add_f32_e32 v0, v0, v18
	v_and_b32_e32 v18, 0x7f800000, v0
	v_cmp_ne_u32_e32 vcc, s37, v18
                                        ; implicit-def: $vgpr18
	s_and_saveexec_b64 s[72:73], vcc
	s_xor_b64 s[72:73], exec, s[72:73]
; %bb.1170:                             ;   in Loop: Header=BB12_1029 Depth=2
	v_bfe_u32 v18, v0, 16, 1
	v_add3_u32 v18, v0, v18, s38
                                        ; implicit-def: $vgpr0
; %bb.1171:                             ;   in Loop: Header=BB12_1029 Depth=2
	s_andn2_saveexec_b64 s[72:73], s[72:73]
; %bb.1172:                             ;   in Loop: Header=BB12_1029 Depth=2
	v_or_b32_e32 v18, 0x10000, v0
	v_cmp_eq_u32_sdwa vcc, v0, v1 src0_sel:WORD_0 src1_sel:DWORD
	v_cndmask_b32_e32 v18, v18, v0, vcc
; %bb.1173:                             ;   in Loop: Header=BB12_1029 Depth=2
	s_or_b64 exec, exec, s[72:73]
	v_and_b32_e32 v0, 0xffff0000, v11
	v_and_b32_e32 v11, 0xffff0000, v19
	v_add_f32_e32 v0, v0, v11
	v_and_b32_e32 v11, 0x7f800000, v0
	v_cmp_ne_u32_e32 vcc, s37, v11
                                        ; implicit-def: $vgpr11
	s_and_saveexec_b64 s[72:73], vcc
	s_xor_b64 s[72:73], exec, s[72:73]
; %bb.1174:                             ;   in Loop: Header=BB12_1029 Depth=2
	v_bfe_u32 v11, v0, 16, 1
	v_add3_u32 v11, v0, v11, s38
                                        ; implicit-def: $vgpr0
; %bb.1175:                             ;   in Loop: Header=BB12_1029 Depth=2
	s_andn2_saveexec_b64 s[72:73], s[72:73]
; %bb.1176:                             ;   in Loop: Header=BB12_1029 Depth=2
	v_or_b32_e32 v11, 0x10000, v0
	v_cmp_eq_u32_sdwa vcc, v0, v1 src0_sel:WORD_0 src1_sel:DWORD
	v_cndmask_b32_e32 v11, v11, v0, vcc
; %bb.1177:                             ;   in Loop: Header=BB12_1029 Depth=2
	s_or_b64 exec, exec, s[72:73]
	v_lshlrev_b32_e32 v0, 16, v12
	v_lshlrev_b32_e32 v19, 16, v20
	v_add_f32_e32 v0, v0, v19
	v_and_b32_e32 v19, 0x7f800000, v0
	v_cmp_ne_u32_e32 vcc, s37, v19
                                        ; implicit-def: $vgpr19
	s_and_saveexec_b64 s[72:73], vcc
	s_xor_b64 s[72:73], exec, s[72:73]
; %bb.1178:                             ;   in Loop: Header=BB12_1029 Depth=2
	v_bfe_u32 v19, v0, 16, 1
	v_add3_u32 v19, v0, v19, s38
                                        ; implicit-def: $vgpr0
; %bb.1179:                             ;   in Loop: Header=BB12_1029 Depth=2
	s_andn2_saveexec_b64 s[72:73], s[72:73]
; %bb.1180:                             ;   in Loop: Header=BB12_1029 Depth=2
	v_or_b32_e32 v19, 0x10000, v0
	v_cmp_eq_u32_sdwa vcc, v0, v1 src0_sel:WORD_0 src1_sel:DWORD
	v_cndmask_b32_e32 v19, v19, v0, vcc
; %bb.1181:                             ;   in Loop: Header=BB12_1029 Depth=2
	s_or_b64 exec, exec, s[72:73]
	v_and_b32_e32 v0, 0xffff0000, v12
	v_and_b32_e32 v12, 0xffff0000, v20
	v_add_f32_e32 v0, v0, v12
	v_and_b32_e32 v12, 0x7f800000, v0
	v_cmp_ne_u32_e32 vcc, s37, v12
                                        ; implicit-def: $vgpr12
	s_and_saveexec_b64 s[72:73], vcc
	s_xor_b64 s[72:73], exec, s[72:73]
; %bb.1182:                             ;   in Loop: Header=BB12_1029 Depth=2
	v_bfe_u32 v12, v0, 16, 1
	v_add3_u32 v12, v0, v12, s38
                                        ; implicit-def: $vgpr0
; %bb.1183:                             ;   in Loop: Header=BB12_1029 Depth=2
	s_andn2_saveexec_b64 s[72:73], s[72:73]
; %bb.1184:                             ;   in Loop: Header=BB12_1029 Depth=2
	v_or_b32_e32 v12, 0x10000, v0
	v_cmp_eq_u32_sdwa vcc, v0, v1 src0_sel:WORD_0 src1_sel:DWORD
	v_cndmask_b32_e32 v12, v12, v0, vcc
; %bb.1185:                             ;   in Loop: Header=BB12_1029 Depth=2
	s_or_b64 exec, exec, s[72:73]
	v_lshlrev_b32_e32 v0, 16, v13
	v_lshlrev_b32_e32 v20, 16, v21
	v_add_f32_e32 v0, v0, v20
	v_and_b32_e32 v20, 0x7f800000, v0
	v_cmp_ne_u32_e32 vcc, s37, v20
                                        ; implicit-def: $vgpr20
	s_and_saveexec_b64 s[72:73], vcc
	s_xor_b64 s[72:73], exec, s[72:73]
; %bb.1186:                             ;   in Loop: Header=BB12_1029 Depth=2
	v_bfe_u32 v20, v0, 16, 1
	v_add3_u32 v20, v0, v20, s38
                                        ; implicit-def: $vgpr0
; %bb.1187:                             ;   in Loop: Header=BB12_1029 Depth=2
	s_andn2_saveexec_b64 s[72:73], s[72:73]
; %bb.1188:                             ;   in Loop: Header=BB12_1029 Depth=2
	v_or_b32_e32 v20, 0x10000, v0
	v_cmp_eq_u32_sdwa vcc, v0, v1 src0_sel:WORD_0 src1_sel:DWORD
	v_cndmask_b32_e32 v20, v20, v0, vcc
; %bb.1189:                             ;   in Loop: Header=BB12_1029 Depth=2
	s_or_b64 exec, exec, s[72:73]
	v_and_b32_e32 v0, 0xffff0000, v13
	v_and_b32_e32 v13, 0xffff0000, v21
	v_add_f32_e32 v0, v0, v13
	v_and_b32_e32 v13, 0x7f800000, v0
	v_cmp_ne_u32_e32 vcc, s37, v13
                                        ; implicit-def: $vgpr13
	s_and_saveexec_b64 s[72:73], vcc
	s_xor_b64 s[72:73], exec, s[72:73]
; %bb.1190:                             ;   in Loop: Header=BB12_1029 Depth=2
	v_bfe_u32 v13, v0, 16, 1
	v_add3_u32 v13, v0, v13, s38
                                        ; implicit-def: $vgpr0
; %bb.1191:                             ;   in Loop: Header=BB12_1029 Depth=2
	s_andn2_saveexec_b64 s[72:73], s[72:73]
; %bb.1192:                             ;   in Loop: Header=BB12_1029 Depth=2
	v_or_b32_e32 v13, 0x10000, v0
	v_cmp_eq_u32_sdwa vcc, v0, v1 src0_sel:WORD_0 src1_sel:DWORD
	v_cndmask_b32_e32 v13, v13, v0, vcc
; %bb.1193:                             ;   in Loop: Header=BB12_1029 Depth=2
	s_or_b64 exec, exec, s[72:73]
	v_lshlrev_b32_e32 v0, 16, v2
	v_lshlrev_b32_e32 v21, 16, v6
	v_add_f32_e32 v0, v0, v21
	v_and_b32_e32 v21, 0x7f800000, v0
	v_cmp_ne_u32_e32 vcc, s37, v21
                                        ; implicit-def: $vgpr21
	s_and_saveexec_b64 s[72:73], vcc
	s_xor_b64 s[72:73], exec, s[72:73]
; %bb.1194:                             ;   in Loop: Header=BB12_1029 Depth=2
	v_bfe_u32 v21, v0, 16, 1
	v_add3_u32 v21, v0, v21, s38
                                        ; implicit-def: $vgpr0
; %bb.1195:                             ;   in Loop: Header=BB12_1029 Depth=2
	s_andn2_saveexec_b64 s[72:73], s[72:73]
; %bb.1196:                             ;   in Loop: Header=BB12_1029 Depth=2
	v_or_b32_e32 v21, 0x10000, v0
	v_cmp_eq_u32_sdwa vcc, v0, v1 src0_sel:WORD_0 src1_sel:DWORD
	v_cndmask_b32_e32 v21, v21, v0, vcc
; %bb.1197:                             ;   in Loop: Header=BB12_1029 Depth=2
	s_or_b64 exec, exec, s[72:73]
	v_and_b32_e32 v0, 0xffff0000, v2
	v_and_b32_e32 v2, 0xffff0000, v6
	v_add_f32_e32 v0, v0, v2
	v_and_b32_e32 v2, 0x7f800000, v0
	v_cmp_ne_u32_e32 vcc, s37, v2
                                        ; implicit-def: $vgpr2
	s_and_saveexec_b64 s[72:73], vcc
	s_xor_b64 s[72:73], exec, s[72:73]
; %bb.1198:                             ;   in Loop: Header=BB12_1029 Depth=2
	v_bfe_u32 v2, v0, 16, 1
	v_add3_u32 v2, v0, v2, s38
                                        ; implicit-def: $vgpr0
; %bb.1199:                             ;   in Loop: Header=BB12_1029 Depth=2
	s_andn2_saveexec_b64 s[72:73], s[72:73]
; %bb.1200:                             ;   in Loop: Header=BB12_1029 Depth=2
	v_or_b32_e32 v2, 0x10000, v0
	v_cmp_eq_u32_sdwa vcc, v0, v1 src0_sel:WORD_0 src1_sel:DWORD
	v_cndmask_b32_e32 v2, v2, v0, vcc
; %bb.1201:                             ;   in Loop: Header=BB12_1029 Depth=2
	s_or_b64 exec, exec, s[72:73]
	v_lshlrev_b32_e32 v0, 16, v3
	v_lshlrev_b32_e32 v6, 16, v7
	v_add_f32_e32 v0, v0, v6
	v_and_b32_e32 v6, 0x7f800000, v0
	v_cmp_ne_u32_e32 vcc, s37, v6
                                        ; implicit-def: $vgpr6
	s_and_saveexec_b64 s[72:73], vcc
	s_xor_b64 s[72:73], exec, s[72:73]
; %bb.1202:                             ;   in Loop: Header=BB12_1029 Depth=2
	v_bfe_u32 v6, v0, 16, 1
	v_add3_u32 v6, v0, v6, s38
                                        ; implicit-def: $vgpr0
; %bb.1203:                             ;   in Loop: Header=BB12_1029 Depth=2
	s_andn2_saveexec_b64 s[72:73], s[72:73]
; %bb.1204:                             ;   in Loop: Header=BB12_1029 Depth=2
	v_or_b32_e32 v6, 0x10000, v0
	v_cmp_eq_u32_sdwa vcc, v0, v1 src0_sel:WORD_0 src1_sel:DWORD
	v_cndmask_b32_e32 v6, v6, v0, vcc
; %bb.1205:                             ;   in Loop: Header=BB12_1029 Depth=2
	s_or_b64 exec, exec, s[72:73]
	v_and_b32_e32 v0, 0xffff0000, v3
	v_and_b32_e32 v3, 0xffff0000, v7
	v_add_f32_e32 v0, v0, v3
	v_and_b32_e32 v3, 0x7f800000, v0
	v_cmp_ne_u32_e32 vcc, s37, v3
                                        ; implicit-def: $vgpr3
	s_and_saveexec_b64 s[72:73], vcc
	s_xor_b64 s[72:73], exec, s[72:73]
; %bb.1206:                             ;   in Loop: Header=BB12_1029 Depth=2
	v_bfe_u32 v3, v0, 16, 1
	v_add3_u32 v3, v0, v3, s38
                                        ; implicit-def: $vgpr0
; %bb.1207:                             ;   in Loop: Header=BB12_1029 Depth=2
	s_andn2_saveexec_b64 s[72:73], s[72:73]
; %bb.1208:                             ;   in Loop: Header=BB12_1029 Depth=2
	v_or_b32_e32 v3, 0x10000, v0
	v_cmp_eq_u32_sdwa vcc, v0, v1 src0_sel:WORD_0 src1_sel:DWORD
	v_cndmask_b32_e32 v3, v3, v0, vcc
; %bb.1209:                             ;   in Loop: Header=BB12_1029 Depth=2
	s_or_b64 exec, exec, s[72:73]
	v_lshlrev_b32_e32 v0, 16, v4
	v_lshlrev_b32_e32 v7, 16, v8
	v_add_f32_e32 v0, v0, v7
	v_and_b32_e32 v7, 0x7f800000, v0
	v_cmp_ne_u32_e32 vcc, s37, v7
                                        ; implicit-def: $vgpr7
	s_and_saveexec_b64 s[72:73], vcc
	s_xor_b64 s[72:73], exec, s[72:73]
; %bb.1210:                             ;   in Loop: Header=BB12_1029 Depth=2
	v_bfe_u32 v7, v0, 16, 1
	v_add3_u32 v7, v0, v7, s38
                                        ; implicit-def: $vgpr0
; %bb.1211:                             ;   in Loop: Header=BB12_1029 Depth=2
	s_andn2_saveexec_b64 s[72:73], s[72:73]
; %bb.1212:                             ;   in Loop: Header=BB12_1029 Depth=2
	v_or_b32_e32 v7, 0x10000, v0
	v_cmp_eq_u32_sdwa vcc, v0, v1 src0_sel:WORD_0 src1_sel:DWORD
	v_cndmask_b32_e32 v7, v7, v0, vcc
; %bb.1213:                             ;   in Loop: Header=BB12_1029 Depth=2
	s_or_b64 exec, exec, s[72:73]
	v_and_b32_e32 v0, 0xffff0000, v4
	v_and_b32_e32 v4, 0xffff0000, v8
	v_add_f32_e32 v0, v0, v4
	v_and_b32_e32 v4, 0x7f800000, v0
	v_cmp_ne_u32_e32 vcc, s37, v4
                                        ; implicit-def: $vgpr4
	s_and_saveexec_b64 s[72:73], vcc
	s_xor_b64 s[72:73], exec, s[72:73]
; %bb.1214:                             ;   in Loop: Header=BB12_1029 Depth=2
	v_bfe_u32 v4, v0, 16, 1
	v_add3_u32 v4, v0, v4, s38
                                        ; implicit-def: $vgpr0
; %bb.1215:                             ;   in Loop: Header=BB12_1029 Depth=2
	s_andn2_saveexec_b64 s[72:73], s[72:73]
; %bb.1216:                             ;   in Loop: Header=BB12_1029 Depth=2
	v_or_b32_e32 v4, 0x10000, v0
	v_cmp_eq_u32_sdwa vcc, v0, v1 src0_sel:WORD_0 src1_sel:DWORD
	v_cndmask_b32_e32 v4, v4, v0, vcc
; %bb.1217:                             ;   in Loop: Header=BB12_1029 Depth=2
	s_or_b64 exec, exec, s[72:73]
	v_lshlrev_b32_e32 v0, 16, v5
	v_lshlrev_b32_e32 v8, 16, v9
	v_add_f32_e32 v0, v0, v8
	v_and_b32_e32 v8, 0x7f800000, v0
	v_cmp_ne_u32_e32 vcc, s37, v8
                                        ; implicit-def: $vgpr8
	s_and_saveexec_b64 s[72:73], vcc
	s_xor_b64 s[72:73], exec, s[72:73]
; %bb.1218:                             ;   in Loop: Header=BB12_1029 Depth=2
	v_bfe_u32 v8, v0, 16, 1
	v_add3_u32 v8, v0, v8, s38
                                        ; implicit-def: $vgpr0
; %bb.1219:                             ;   in Loop: Header=BB12_1029 Depth=2
	s_andn2_saveexec_b64 s[72:73], s[72:73]
; %bb.1220:                             ;   in Loop: Header=BB12_1029 Depth=2
	v_or_b32_e32 v8, 0x10000, v0
	v_cmp_eq_u32_sdwa vcc, v0, v1 src0_sel:WORD_0 src1_sel:DWORD
	v_cndmask_b32_e32 v8, v8, v0, vcc
; %bb.1221:                             ;   in Loop: Header=BB12_1029 Depth=2
	s_or_b64 exec, exec, s[72:73]
	v_and_b32_e32 v0, 0xffff0000, v5
	v_and_b32_e32 v5, 0xffff0000, v9
	v_add_f32_e32 v0, v0, v5
	v_and_b32_e32 v5, 0x7f800000, v0
	v_cmp_ne_u32_e32 vcc, s37, v5
                                        ; implicit-def: $vgpr5
	s_and_saveexec_b64 s[72:73], vcc
	s_xor_b64 s[72:73], exec, s[72:73]
; %bb.1222:                             ;   in Loop: Header=BB12_1029 Depth=2
	v_bfe_u32 v5, v0, 16, 1
	v_add3_u32 v5, v0, v5, s38
                                        ; implicit-def: $vgpr0
; %bb.1223:                             ;   in Loop: Header=BB12_1029 Depth=2
	s_andn2_saveexec_b64 s[72:73], s[72:73]
; %bb.1224:                             ;   in Loop: Header=BB12_1029 Depth=2
	v_or_b32_e32 v5, 0x10000, v0
	v_cmp_eq_u32_sdwa vcc, v0, v1 src0_sel:WORD_0 src1_sel:DWORD
	v_cndmask_b32_e32 v5, v5, v0, vcc
; %bb.1225:                             ;   in Loop: Header=BB12_1029 Depth=2
	s_or_b64 exec, exec, s[72:73]
	v_lshlrev_b32_e32 v0, 16, v40
	v_lshlrev_b32_e32 v9, 16, v44
	v_add_f32_e32 v0, v0, v9
	v_and_b32_e32 v9, 0x7f800000, v0
	v_cmp_ne_u32_e32 vcc, s37, v9
                                        ; implicit-def: $vgpr9
	s_and_saveexec_b64 s[72:73], vcc
	s_xor_b64 s[72:73], exec, s[72:73]
; %bb.1226:                             ;   in Loop: Header=BB12_1029 Depth=2
	v_bfe_u32 v9, v0, 16, 1
	v_add3_u32 v9, v0, v9, s38
                                        ; implicit-def: $vgpr0
; %bb.1227:                             ;   in Loop: Header=BB12_1029 Depth=2
	s_andn2_saveexec_b64 s[72:73], s[72:73]
; %bb.1228:                             ;   in Loop: Header=BB12_1029 Depth=2
	v_or_b32_e32 v9, 0x10000, v0
	v_cmp_eq_u32_sdwa vcc, v0, v1 src0_sel:WORD_0 src1_sel:DWORD
	v_cndmask_b32_e32 v9, v9, v0, vcc
; %bb.1229:                             ;   in Loop: Header=BB12_1029 Depth=2
	s_or_b64 exec, exec, s[72:73]
	v_and_b32_e32 v0, 0xffff0000, v40
	v_and_b32_e32 v24, 0xffff0000, v44
	v_add_f32_e32 v0, v0, v24
	v_and_b32_e32 v24, 0x7f800000, v0
	v_cmp_ne_u32_e32 vcc, s37, v24
                                        ; implicit-def: $vgpr24
	s_and_saveexec_b64 s[72:73], vcc
	s_xor_b64 s[72:73], exec, s[72:73]
; %bb.1230:                             ;   in Loop: Header=BB12_1029 Depth=2
	v_bfe_u32 v24, v0, 16, 1
	v_add3_u32 v24, v0, v24, s38
                                        ; implicit-def: $vgpr0
; %bb.1231:                             ;   in Loop: Header=BB12_1029 Depth=2
	s_andn2_saveexec_b64 s[72:73], s[72:73]
; %bb.1232:                             ;   in Loop: Header=BB12_1029 Depth=2
	v_or_b32_e32 v24, 0x10000, v0
	v_cmp_eq_u32_sdwa vcc, v0, v1 src0_sel:WORD_0 src1_sel:DWORD
	v_cndmask_b32_e32 v24, v24, v0, vcc
; %bb.1233:                             ;   in Loop: Header=BB12_1029 Depth=2
	s_or_b64 exec, exec, s[72:73]
	v_lshlrev_b32_e32 v0, 16, v41
	v_lshlrev_b32_e32 v32, 16, v45
	v_add_f32_e32 v0, v0, v32
	v_and_b32_e32 v32, 0x7f800000, v0
	v_cmp_ne_u32_e32 vcc, s37, v32
                                        ; implicit-def: $vgpr40
	s_and_saveexec_b64 s[72:73], vcc
	s_xor_b64 s[72:73], exec, s[72:73]
; %bb.1234:                             ;   in Loop: Header=BB12_1029 Depth=2
	v_bfe_u32 v32, v0, 16, 1
	v_add3_u32 v40, v0, v32, s38
                                        ; implicit-def: $vgpr0
; %bb.1235:                             ;   in Loop: Header=BB12_1029 Depth=2
	s_andn2_saveexec_b64 s[72:73], s[72:73]
; %bb.1236:                             ;   in Loop: Header=BB12_1029 Depth=2
	v_or_b32_e32 v32, 0x10000, v0
	v_cmp_eq_u32_sdwa vcc, v0, v1 src0_sel:WORD_0 src1_sel:DWORD
	v_cndmask_b32_e32 v40, v32, v0, vcc
; %bb.1237:                             ;   in Loop: Header=BB12_1029 Depth=2
	s_or_b64 exec, exec, s[72:73]
	v_and_b32_e32 v0, 0xffff0000, v41
	v_and_b32_e32 v32, 0xffff0000, v45
	v_add_f32_e32 v0, v0, v32
	v_and_b32_e32 v32, 0x7f800000, v0
	v_cmp_ne_u32_e32 vcc, s37, v32
                                        ; implicit-def: $vgpr41
	s_and_saveexec_b64 s[72:73], vcc
	s_xor_b64 s[72:73], exec, s[72:73]
; %bb.1238:                             ;   in Loop: Header=BB12_1029 Depth=2
	v_bfe_u32 v32, v0, 16, 1
	v_add3_u32 v41, v0, v32, s38
                                        ; implicit-def: $vgpr0
; %bb.1239:                             ;   in Loop: Header=BB12_1029 Depth=2
	s_andn2_saveexec_b64 s[72:73], s[72:73]
; %bb.1240:                             ;   in Loop: Header=BB12_1029 Depth=2
	v_or_b32_e32 v32, 0x10000, v0
	v_cmp_eq_u32_sdwa vcc, v0, v1 src0_sel:WORD_0 src1_sel:DWORD
	v_cndmask_b32_e32 v41, v32, v0, vcc
; %bb.1241:                             ;   in Loop: Header=BB12_1029 Depth=2
	s_or_b64 exec, exec, s[72:73]
	v_lshlrev_b32_e32 v0, 16, v42
	v_lshlrev_b32_e32 v32, 16, v46
	v_add_f32_e32 v0, v0, v32
	v_and_b32_e32 v32, 0x7f800000, v0
	v_cmp_ne_u32_e32 vcc, s37, v32
                                        ; implicit-def: $vgpr44
	s_and_saveexec_b64 s[72:73], vcc
	s_xor_b64 s[72:73], exec, s[72:73]
; %bb.1242:                             ;   in Loop: Header=BB12_1029 Depth=2
	v_bfe_u32 v32, v0, 16, 1
	v_add3_u32 v44, v0, v32, s38
                                        ; implicit-def: $vgpr0
; %bb.1243:                             ;   in Loop: Header=BB12_1029 Depth=2
	s_andn2_saveexec_b64 s[72:73], s[72:73]
; %bb.1244:                             ;   in Loop: Header=BB12_1029 Depth=2
	v_or_b32_e32 v32, 0x10000, v0
	v_cmp_eq_u32_sdwa vcc, v0, v1 src0_sel:WORD_0 src1_sel:DWORD
	v_cndmask_b32_e32 v44, v32, v0, vcc
; %bb.1245:                             ;   in Loop: Header=BB12_1029 Depth=2
	s_or_b64 exec, exec, s[72:73]
	v_and_b32_e32 v0, 0xffff0000, v42
	v_and_b32_e32 v32, 0xffff0000, v46
	v_add_f32_e32 v0, v0, v32
	v_and_b32_e32 v32, 0x7f800000, v0
	v_cmp_ne_u32_e32 vcc, s37, v32
                                        ; implicit-def: $vgpr42
	s_and_saveexec_b64 s[72:73], vcc
	s_xor_b64 s[72:73], exec, s[72:73]
; %bb.1246:                             ;   in Loop: Header=BB12_1029 Depth=2
	v_bfe_u32 v32, v0, 16, 1
	v_add3_u32 v42, v0, v32, s38
                                        ; implicit-def: $vgpr0
; %bb.1247:                             ;   in Loop: Header=BB12_1029 Depth=2
	s_andn2_saveexec_b64 s[72:73], s[72:73]
; %bb.1248:                             ;   in Loop: Header=BB12_1029 Depth=2
	v_or_b32_e32 v32, 0x10000, v0
	v_cmp_eq_u32_sdwa vcc, v0, v1 src0_sel:WORD_0 src1_sel:DWORD
	v_cndmask_b32_e32 v42, v32, v0, vcc
; %bb.1249:                             ;   in Loop: Header=BB12_1029 Depth=2
	s_or_b64 exec, exec, s[72:73]
	v_lshlrev_b32_e32 v0, 16, v43
	v_lshlrev_b32_e32 v32, 16, v47
	v_add_f32_e32 v0, v0, v32
	v_and_b32_e32 v32, 0x7f800000, v0
	v_cmp_ne_u32_e32 vcc, s37, v32
                                        ; implicit-def: $vgpr45
	s_and_saveexec_b64 s[72:73], vcc
	s_xor_b64 s[72:73], exec, s[72:73]
; %bb.1250:                             ;   in Loop: Header=BB12_1029 Depth=2
	v_bfe_u32 v32, v0, 16, 1
	v_add3_u32 v45, v0, v32, s38
                                        ; implicit-def: $vgpr0
; %bb.1251:                             ;   in Loop: Header=BB12_1029 Depth=2
	s_andn2_saveexec_b64 s[72:73], s[72:73]
; %bb.1252:                             ;   in Loop: Header=BB12_1029 Depth=2
	v_or_b32_e32 v32, 0x10000, v0
	v_cmp_eq_u32_sdwa vcc, v0, v1 src0_sel:WORD_0 src1_sel:DWORD
	v_cndmask_b32_e32 v45, v32, v0, vcc
; %bb.1253:                             ;   in Loop: Header=BB12_1029 Depth=2
	s_or_b64 exec, exec, s[72:73]
	v_and_b32_e32 v0, 0xffff0000, v43
	v_and_b32_e32 v32, 0xffff0000, v47
	v_add_f32_e32 v0, v0, v32
	v_and_b32_e32 v32, 0x7f800000, v0
	v_cmp_ne_u32_e32 vcc, s37, v32
                                        ; implicit-def: $vgpr43
	s_and_saveexec_b64 s[72:73], vcc
	s_xor_b64 s[72:73], exec, s[72:73]
; %bb.1254:                             ;   in Loop: Header=BB12_1029 Depth=2
	v_bfe_u32 v32, v0, 16, 1
	v_add3_u32 v43, v0, v32, s38
                                        ; implicit-def: $vgpr0
; %bb.1255:                             ;   in Loop: Header=BB12_1029 Depth=2
	s_andn2_saveexec_b64 s[72:73], s[72:73]
; %bb.1256:                             ;   in Loop: Header=BB12_1029 Depth=2
	v_or_b32_e32 v32, 0x10000, v0
	v_cmp_eq_u32_sdwa vcc, v0, v1 src0_sel:WORD_0 src1_sel:DWORD
	v_cndmask_b32_e32 v43, v32, v0, vcc
; %bb.1257:                             ;   in Loop: Header=BB12_1029 Depth=2
	s_or_b64 exec, exec, s[72:73]
	v_lshlrev_b32_e32 v0, 16, v48
	v_lshlrev_b32_e32 v32, 16, v52
	v_add_f32_e32 v0, v0, v32
	v_and_b32_e32 v32, 0x7f800000, v0
	v_cmp_ne_u32_e32 vcc, s37, v32
                                        ; implicit-def: $vgpr46
	s_and_saveexec_b64 s[72:73], vcc
	s_xor_b64 s[72:73], exec, s[72:73]
; %bb.1258:                             ;   in Loop: Header=BB12_1029 Depth=2
	v_bfe_u32 v32, v0, 16, 1
	v_add3_u32 v46, v0, v32, s38
                                        ; implicit-def: $vgpr0
; %bb.1259:                             ;   in Loop: Header=BB12_1029 Depth=2
	s_andn2_saveexec_b64 s[72:73], s[72:73]
; %bb.1260:                             ;   in Loop: Header=BB12_1029 Depth=2
	v_or_b32_e32 v32, 0x10000, v0
	v_cmp_eq_u32_sdwa vcc, v0, v1 src0_sel:WORD_0 src1_sel:DWORD
	v_cndmask_b32_e32 v46, v32, v0, vcc
; %bb.1261:                             ;   in Loop: Header=BB12_1029 Depth=2
	s_or_b64 exec, exec, s[72:73]
	v_and_b32_e32 v0, 0xffff0000, v48
	v_and_b32_e32 v32, 0xffff0000, v52
	v_add_f32_e32 v0, v0, v32
	v_and_b32_e32 v32, 0x7f800000, v0
	v_cmp_ne_u32_e32 vcc, s37, v32
                                        ; implicit-def: $vgpr48
	s_and_saveexec_b64 s[72:73], vcc
	s_xor_b64 s[72:73], exec, s[72:73]
; %bb.1262:                             ;   in Loop: Header=BB12_1029 Depth=2
	v_bfe_u32 v32, v0, 16, 1
	v_add3_u32 v48, v0, v32, s38
                                        ; implicit-def: $vgpr0
; %bb.1263:                             ;   in Loop: Header=BB12_1029 Depth=2
	s_andn2_saveexec_b64 s[72:73], s[72:73]
; %bb.1264:                             ;   in Loop: Header=BB12_1029 Depth=2
	v_or_b32_e32 v32, 0x10000, v0
	v_cmp_eq_u32_sdwa vcc, v0, v1 src0_sel:WORD_0 src1_sel:DWORD
	v_cndmask_b32_e32 v48, v32, v0, vcc
; %bb.1265:                             ;   in Loop: Header=BB12_1029 Depth=2
	s_or_b64 exec, exec, s[72:73]
	v_lshlrev_b32_e32 v0, 16, v49
	v_lshlrev_b32_e32 v32, 16, v53
	v_add_f32_e32 v32, v0, v32
	v_and_b32_e32 v0, 0x7f800000, v32
	v_cmp_ne_u32_e32 vcc, s37, v0
                                        ; implicit-def: $vgpr0
	s_and_saveexec_b64 s[72:73], vcc
	s_xor_b64 s[72:73], exec, s[72:73]
; %bb.1266:                             ;   in Loop: Header=BB12_1029 Depth=2
	v_bfe_u32 v0, v32, 16, 1
	v_add3_u32 v0, v32, v0, s38
                                        ; implicit-def: $vgpr32
; %bb.1267:                             ;   in Loop: Header=BB12_1029 Depth=2
	s_andn2_saveexec_b64 s[72:73], s[72:73]
; %bb.1268:                             ;   in Loop: Header=BB12_1029 Depth=2
	v_or_b32_e32 v0, 0x10000, v32
	v_cmp_eq_u32_sdwa vcc, v32, v1 src0_sel:WORD_0 src1_sel:DWORD
	v_cndmask_b32_e32 v0, v0, v32, vcc
; %bb.1269:                             ;   in Loop: Header=BB12_1029 Depth=2
	s_or_b64 exec, exec, s[72:73]
	v_and_b32_e32 v32, 0xffff0000, v49
	v_and_b32_e32 v33, 0xffff0000, v53
	v_add_f32_e32 v32, v32, v33
	v_and_b32_e32 v33, 0x7f800000, v32
	v_cmp_ne_u32_e32 vcc, s37, v33
                                        ; implicit-def: $vgpr49
	s_and_saveexec_b64 s[72:73], vcc
	s_xor_b64 s[72:73], exec, s[72:73]
; %bb.1270:                             ;   in Loop: Header=BB12_1029 Depth=2
	v_bfe_u32 v33, v32, 16, 1
	v_add3_u32 v49, v32, v33, s38
                                        ; implicit-def: $vgpr32
; %bb.1271:                             ;   in Loop: Header=BB12_1029 Depth=2
	s_andn2_saveexec_b64 s[72:73], s[72:73]
; %bb.1272:                             ;   in Loop: Header=BB12_1029 Depth=2
	v_or_b32_e32 v33, 0x10000, v32
	v_cmp_eq_u32_sdwa vcc, v32, v1 src0_sel:WORD_0 src1_sel:DWORD
	v_cndmask_b32_e32 v49, v33, v32, vcc
; %bb.1273:                             ;   in Loop: Header=BB12_1029 Depth=2
	s_or_b64 exec, exec, s[72:73]
	v_lshlrev_b32_e32 v32, 16, v50
	v_lshlrev_b32_e32 v33, 16, v54
	v_add_f32_e32 v32, v32, v33
	v_and_b32_e32 v33, 0x7f800000, v32
	v_cmp_ne_u32_e32 vcc, s37, v33
                                        ; implicit-def: $vgpr52
	s_and_saveexec_b64 s[72:73], vcc
	s_xor_b64 s[72:73], exec, s[72:73]
; %bb.1274:                             ;   in Loop: Header=BB12_1029 Depth=2
	v_bfe_u32 v33, v32, 16, 1
	v_add3_u32 v52, v32, v33, s38
                                        ; implicit-def: $vgpr32
; %bb.1275:                             ;   in Loop: Header=BB12_1029 Depth=2
	s_andn2_saveexec_b64 s[72:73], s[72:73]
; %bb.1276:                             ;   in Loop: Header=BB12_1029 Depth=2
	v_or_b32_e32 v33, 0x10000, v32
	v_cmp_eq_u32_sdwa vcc, v32, v1 src0_sel:WORD_0 src1_sel:DWORD
	v_cndmask_b32_e32 v52, v33, v32, vcc
; %bb.1277:                             ;   in Loop: Header=BB12_1029 Depth=2
	s_or_b64 exec, exec, s[72:73]
	v_and_b32_e32 v32, 0xffff0000, v50
	v_and_b32_e32 v33, 0xffff0000, v54
	v_add_f32_e32 v32, v32, v33
	v_and_b32_e32 v33, 0x7f800000, v32
	v_cmp_ne_u32_e32 vcc, s37, v33
                                        ; implicit-def: $vgpr50
	s_and_saveexec_b64 s[72:73], vcc
	s_xor_b64 s[72:73], exec, s[72:73]
; %bb.1278:                             ;   in Loop: Header=BB12_1029 Depth=2
	v_bfe_u32 v33, v32, 16, 1
	v_add3_u32 v50, v32, v33, s38
                                        ; implicit-def: $vgpr32
; %bb.1279:                             ;   in Loop: Header=BB12_1029 Depth=2
	s_andn2_saveexec_b64 s[72:73], s[72:73]
; %bb.1280:                             ;   in Loop: Header=BB12_1029 Depth=2
	v_or_b32_e32 v33, 0x10000, v32
	v_cmp_eq_u32_sdwa vcc, v32, v1 src0_sel:WORD_0 src1_sel:DWORD
	v_cndmask_b32_e32 v50, v33, v32, vcc
; %bb.1281:                             ;   in Loop: Header=BB12_1029 Depth=2
	s_or_b64 exec, exec, s[72:73]
	v_lshlrev_b32_e32 v32, 16, v51
	v_lshlrev_b32_e32 v33, 16, v55
	v_add_f32_e32 v33, v32, v33
	v_and_b32_e32 v32, 0x7f800000, v33
	v_cmp_ne_u32_e32 vcc, s37, v32
                                        ; implicit-def: $vgpr32
	s_and_saveexec_b64 s[72:73], vcc
	s_xor_b64 s[72:73], exec, s[72:73]
; %bb.1282:                             ;   in Loop: Header=BB12_1029 Depth=2
	v_bfe_u32 v32, v33, 16, 1
	v_add3_u32 v32, v33, v32, s38
                                        ; implicit-def: $vgpr33
; %bb.1283:                             ;   in Loop: Header=BB12_1029 Depth=2
	s_andn2_saveexec_b64 s[72:73], s[72:73]
; %bb.1284:                             ;   in Loop: Header=BB12_1029 Depth=2
	v_or_b32_e32 v32, 0x10000, v33
	v_cmp_eq_u32_sdwa vcc, v33, v1 src0_sel:WORD_0 src1_sel:DWORD
	v_cndmask_b32_e32 v32, v32, v33, vcc
; %bb.1285:                             ;   in Loop: Header=BB12_1029 Depth=2
	s_or_b64 exec, exec, s[72:73]
	v_and_b32_e32 v33, 0xffff0000, v51
	v_and_b32_e32 v34, 0xffff0000, v55
	v_add_f32_e32 v34, v33, v34
	v_and_b32_e32 v33, 0x7f800000, v34
	v_cmp_ne_u32_e32 vcc, s37, v33
                                        ; implicit-def: $vgpr33
	s_and_saveexec_b64 s[72:73], vcc
	s_xor_b64 s[72:73], exec, s[72:73]
; %bb.1286:                             ;   in Loop: Header=BB12_1029 Depth=2
	v_bfe_u32 v33, v34, 16, 1
	v_add3_u32 v33, v34, v33, s38
                                        ; implicit-def: $vgpr34
; %bb.1287:                             ;   in Loop: Header=BB12_1029 Depth=2
	s_andn2_saveexec_b64 s[72:73], s[72:73]
; %bb.1288:                             ;   in Loop: Header=BB12_1029 Depth=2
	v_or_b32_e32 v33, 0x10000, v34
	v_cmp_eq_u32_sdwa vcc, v34, v1 src0_sel:WORD_0 src1_sel:DWORD
	v_cndmask_b32_e32 v33, v33, v34, vcc
; %bb.1289:                             ;   in Loop: Header=BB12_1029 Depth=2
	s_or_b64 exec, exec, s[72:73]
	v_lshrrev_b32_e32 v6, 16, v6
	v_and_or_b32 v3, v3, s39, v6
	v_lshrrev_b32_e32 v6, 16, v21
	v_and_or_b32 v2, v2, s39, v6
	v_lshrrev_b32_e32 v6, 16, v7
	v_lshrrev_b32_e32 v9, 16, v9
	v_and_or_b32 v4, v4, s39, v6
	v_lshrrev_b32_e32 v6, 16, v8
	;; [unrolled: 3-line block ×3, first 2 shown]
	v_and_or_b32 v5, v5, s39, v6
	v_lshrrev_b32_e32 v6, 16, v18
	v_lshrrev_b32_e32 v0, 16, v0
	v_and_or_b32 v42, v42, s39, v9
	v_lshrrev_b32_e32 v9, 16, v45
	v_and_or_b32 v7, v11, s39, v6
	;; [unrolled: 2-line block ×4, first 2 shown]
	v_and_or_b32 v6, v10, s39, v6
	v_lshrrev_b32_e32 v8, 16, v19
	v_lshrrev_b32_e32 v9, 16, v20
	v_and_or_b32 v10, v48, s39, v0
	v_lshrrev_b32_e32 v0, 16, v52
	v_and_or_b32 v8, v12, s39, v8
	v_and_or_b32 v9, v13, s39, v9
	;; [unrolled: 1-line block ×3, first 2 shown]
	v_lshrrev_b32_e32 v0, 16, v32
	v_and_or_b32 v41, v41, s39, v34
	v_and_or_b32 v13, v33, s39, v0
	global_store_dwordx4 v[30:31], v[6:9], off glc slc
	global_store_dwordx4 v[30:31], v[2:5], off offset:1024 glc slc
	global_store_dwordx4 v[30:31], v[40:43], off offset:2048 glc slc
	;; [unrolled: 1-line block ×3, first 2 shown]
	v_add_co_u32_e32 v30, vcc, 0x1000, v30
	v_addc_co_u32_e32 v31, vcc, 0, v31, vcc
	s_and_saveexec_b64 s[72:73], s[62:63]
	s_cbranch_execz .LBB12_1028
; %bb.1290:                             ;   in Loop: Header=BB12_1029 Depth=2
	buffer_load_dword v0, off, s[0:3], s33 offset:232 ; 4-byte Folded Reload
	buffer_load_dword v2, off, s[0:3], s33 offset:248 ; 4-byte Folded Reload
	s_waitcnt vmcnt(0)
	v_sub_u32_e32 v2, v2, v0
	buffer_load_dword v0, off, s[0:3], s33 offset:416 ; 4-byte Folded Reload
	s_nop 0
	buffer_store_dword v2, off, s[0:3], s33 offset:248 ; 4-byte Folded Spill
	buffer_load_dword v2, off, s[0:3], s33 offset:424 ; 4-byte Folded Reload
	s_waitcnt vmcnt(2)
	v_add_co_u32_e32 v30, vcc, v30, v0
	s_waitcnt vmcnt(0)
	v_addc_co_u32_e32 v31, vcc, v31, v2, vcc
	v_add_co_u32_e32 v60, vcc, v60, v0
	v_addc_co_u32_e32 v61, vcc, v61, v2, vcc
	v_add_co_u32_e32 v22, vcc, v22, v0
	v_addc_co_u32_e32 v23, vcc, v23, v2, vcc
	s_branch .LBB12_1028
.LBB12_1291:                            ;   in Loop: Header=BB12_952 Depth=1
	buffer_load_dword v9, off, s[0:3], s33 offset:504 ; 4-byte Folded Reload
	v_mov_b32_e32 v2, v50
	s_and_saveexec_b64 s[20:21], s[58:59]
	s_cbranch_execnz .LBB12_1539
	s_branch .LBB12_1766
.LBB12_1292:                            ;   in Loop: Header=BB12_952 Depth=1
	s_or_b64 exec, exec, s[20:21]
	buffer_load_dword v53, off, s[0:3], s33 offset:456 ; 4-byte Folded Reload
	buffer_load_dword v50, off, s[0:3], s33 offset:516 ; 4-byte Folded Reload
	;; [unrolled: 1-line block ×14, first 2 shown]
	s_and_b64 s[20:21], s[60:61], exec
.LBB12_1293:                            ;   in Loop: Header=BB12_952 Depth=1
	s_or_b64 exec, exec, s[18:19]
	s_and_saveexec_b64 s[18:19], s[20:21]
	s_cbranch_execz .LBB12_1423
; %bb.1294:                             ;   in Loop: Header=BB12_952 Depth=1
	buffer_load_dword v2, off, s[0:3], s33 offset:216 ; 4-byte Folded Reload
	buffer_load_dword v3, off, s[0:3], s33 offset:220 ; 4-byte Folded Reload
	;; [unrolled: 1-line block ×4, first 2 shown]
	v_lshlrev_b32_e32 v0, 16, v56
	s_waitcnt vmcnt(3)
	v_lshlrev_b32_e32 v2, 16, v2
	v_add_f32_e32 v0, v2, v0
	v_and_b32_e32 v2, 0x7f800000, v0
	v_cmp_ne_u32_e32 vcc, s37, v2
                                        ; implicit-def: $vgpr2
	s_and_saveexec_b64 s[20:21], vcc
	s_xor_b64 s[20:21], exec, s[20:21]
; %bb.1295:                             ;   in Loop: Header=BB12_952 Depth=1
	v_bfe_u32 v2, v0, 16, 1
	v_add3_u32 v2, v0, v2, s38
                                        ; implicit-def: $vgpr0
; %bb.1296:                             ;   in Loop: Header=BB12_952 Depth=1
	s_andn2_saveexec_b64 s[20:21], s[20:21]
; %bb.1297:                             ;   in Loop: Header=BB12_952 Depth=1
	v_or_b32_e32 v2, 0x10000, v0
	v_cmp_eq_u32_sdwa vcc, v0, v1 src0_sel:WORD_0 src1_sel:DWORD
	v_cndmask_b32_e32 v2, v2, v0, vcc
; %bb.1298:                             ;   in Loop: Header=BB12_952 Depth=1
	s_or_b64 exec, exec, s[20:21]
	buffer_load_dword v3, off, s[0:3], s33 offset:216 ; 4-byte Folded Reload
	buffer_load_dword v4, off, s[0:3], s33 offset:220 ; 4-byte Folded Reload
	;; [unrolled: 1-line block ×4, first 2 shown]
	v_and_b32_e32 v0, 0xffff0000, v56
	s_waitcnt vmcnt(3)
	v_and_b32_e32 v3, 0xffff0000, v3
	v_add_f32_e32 v0, v3, v0
	v_and_b32_e32 v3, 0x7f800000, v0
	v_cmp_ne_u32_e32 vcc, s37, v3
                                        ; implicit-def: $vgpr3
	s_and_saveexec_b64 s[20:21], vcc
	s_xor_b64 s[20:21], exec, s[20:21]
; %bb.1299:                             ;   in Loop: Header=BB12_952 Depth=1
	v_bfe_u32 v3, v0, 16, 1
	v_add3_u32 v3, v0, v3, s38
                                        ; implicit-def: $vgpr0
; %bb.1300:                             ;   in Loop: Header=BB12_952 Depth=1
	s_andn2_saveexec_b64 s[20:21], s[20:21]
; %bb.1301:                             ;   in Loop: Header=BB12_952 Depth=1
	v_or_b32_e32 v3, 0x10000, v0
	v_cmp_eq_u32_sdwa vcc, v0, v1 src0_sel:WORD_0 src1_sel:DWORD
	v_cndmask_b32_e32 v3, v3, v0, vcc
; %bb.1302:                             ;   in Loop: Header=BB12_952 Depth=1
	s_or_b64 exec, exec, s[20:21]
	buffer_load_dword v4, off, s[0:3], s33 offset:216 ; 4-byte Folded Reload
	buffer_load_dword v5, off, s[0:3], s33 offset:220 ; 4-byte Folded Reload
	;; [unrolled: 1-line block ×4, first 2 shown]
	v_lshlrev_b32_e32 v0, 16, v57
	s_waitcnt vmcnt(2)
	v_lshlrev_b32_e32 v4, 16, v5
	v_add_f32_e32 v0, v4, v0
	v_and_b32_e32 v4, 0x7f800000, v0
	v_cmp_ne_u32_e32 vcc, s37, v4
                                        ; implicit-def: $vgpr4
	s_and_saveexec_b64 s[20:21], vcc
	s_xor_b64 s[20:21], exec, s[20:21]
; %bb.1303:                             ;   in Loop: Header=BB12_952 Depth=1
	v_bfe_u32 v4, v0, 16, 1
	v_add3_u32 v4, v0, v4, s38
                                        ; implicit-def: $vgpr0
; %bb.1304:                             ;   in Loop: Header=BB12_952 Depth=1
	s_andn2_saveexec_b64 s[20:21], s[20:21]
; %bb.1305:                             ;   in Loop: Header=BB12_952 Depth=1
	v_or_b32_e32 v4, 0x10000, v0
	v_cmp_eq_u32_sdwa vcc, v0, v1 src0_sel:WORD_0 src1_sel:DWORD
	v_cndmask_b32_e32 v4, v4, v0, vcc
; %bb.1306:                             ;   in Loop: Header=BB12_952 Depth=1
	s_or_b64 exec, exec, s[20:21]
	buffer_load_dword v5, off, s[0:3], s33 offset:216 ; 4-byte Folded Reload
	buffer_load_dword v6, off, s[0:3], s33 offset:220 ; 4-byte Folded Reload
	;; [unrolled: 1-line block ×4, first 2 shown]
	v_and_b32_e32 v0, 0xffff0000, v57
	s_waitcnt vmcnt(2)
	v_and_b32_e32 v5, 0xffff0000, v6
	v_add_f32_e32 v0, v5, v0
	v_and_b32_e32 v5, 0x7f800000, v0
	v_cmp_ne_u32_e32 vcc, s37, v5
                                        ; implicit-def: $vgpr5
	s_and_saveexec_b64 s[20:21], vcc
	s_xor_b64 s[20:21], exec, s[20:21]
; %bb.1307:                             ;   in Loop: Header=BB12_952 Depth=1
	v_bfe_u32 v5, v0, 16, 1
	v_add3_u32 v5, v0, v5, s38
                                        ; implicit-def: $vgpr0
; %bb.1308:                             ;   in Loop: Header=BB12_952 Depth=1
	s_andn2_saveexec_b64 s[20:21], s[20:21]
; %bb.1309:                             ;   in Loop: Header=BB12_952 Depth=1
	v_or_b32_e32 v5, 0x10000, v0
	v_cmp_eq_u32_sdwa vcc, v0, v1 src0_sel:WORD_0 src1_sel:DWORD
	v_cndmask_b32_e32 v5, v5, v0, vcc
; %bb.1310:                             ;   in Loop: Header=BB12_952 Depth=1
	s_or_b64 exec, exec, s[20:21]
	buffer_load_dword v6, off, s[0:3], s33 offset:216 ; 4-byte Folded Reload
	buffer_load_dword v7, off, s[0:3], s33 offset:220 ; 4-byte Folded Reload
	;; [unrolled: 1-line block ×4, first 2 shown]
	v_lshlrev_b32_e32 v0, 16, v58
	s_waitcnt vmcnt(1)
	v_lshlrev_b32_e32 v6, 16, v8
	v_add_f32_e32 v0, v6, v0
	v_and_b32_e32 v6, 0x7f800000, v0
	v_cmp_ne_u32_e32 vcc, s37, v6
                                        ; implicit-def: $vgpr6
	s_and_saveexec_b64 s[20:21], vcc
	s_xor_b64 s[20:21], exec, s[20:21]
; %bb.1311:                             ;   in Loop: Header=BB12_952 Depth=1
	v_bfe_u32 v6, v0, 16, 1
	v_add3_u32 v6, v0, v6, s38
                                        ; implicit-def: $vgpr0
; %bb.1312:                             ;   in Loop: Header=BB12_952 Depth=1
	s_andn2_saveexec_b64 s[20:21], s[20:21]
; %bb.1313:                             ;   in Loop: Header=BB12_952 Depth=1
	v_or_b32_e32 v6, 0x10000, v0
	v_cmp_eq_u32_sdwa vcc, v0, v1 src0_sel:WORD_0 src1_sel:DWORD
	v_cndmask_b32_e32 v6, v6, v0, vcc
; %bb.1314:                             ;   in Loop: Header=BB12_952 Depth=1
	s_or_b64 exec, exec, s[20:21]
	buffer_load_dword v7, off, s[0:3], s33 offset:216 ; 4-byte Folded Reload
	buffer_load_dword v8, off, s[0:3], s33 offset:220 ; 4-byte Folded Reload
	;; [unrolled: 1-line block ×4, first 2 shown]
	v_and_b32_e32 v0, 0xffff0000, v58
	s_waitcnt vmcnt(1)
	v_and_b32_e32 v7, 0xffff0000, v9
	v_add_f32_e32 v0, v7, v0
	v_and_b32_e32 v7, 0x7f800000, v0
	v_cmp_ne_u32_e32 vcc, s37, v7
                                        ; implicit-def: $vgpr7
	s_and_saveexec_b64 s[20:21], vcc
	s_xor_b64 s[20:21], exec, s[20:21]
; %bb.1315:                             ;   in Loop: Header=BB12_952 Depth=1
	v_bfe_u32 v7, v0, 16, 1
	v_add3_u32 v7, v0, v7, s38
                                        ; implicit-def: $vgpr0
; %bb.1316:                             ;   in Loop: Header=BB12_952 Depth=1
	s_andn2_saveexec_b64 s[20:21], s[20:21]
; %bb.1317:                             ;   in Loop: Header=BB12_952 Depth=1
	v_or_b32_e32 v7, 0x10000, v0
	v_cmp_eq_u32_sdwa vcc, v0, v1 src0_sel:WORD_0 src1_sel:DWORD
	v_cndmask_b32_e32 v7, v7, v0, vcc
; %bb.1318:                             ;   in Loop: Header=BB12_952 Depth=1
	s_or_b64 exec, exec, s[20:21]
	buffer_load_dword v8, off, s[0:3], s33 offset:216 ; 4-byte Folded Reload
	buffer_load_dword v9, off, s[0:3], s33 offset:220 ; 4-byte Folded Reload
	;; [unrolled: 1-line block ×4, first 2 shown]
	v_lshlrev_b32_e32 v0, 16, v59
	s_waitcnt vmcnt(0)
	v_lshlrev_b32_e32 v8, 16, v11
	v_add_f32_e32 v0, v8, v0
	v_and_b32_e32 v8, 0x7f800000, v0
	v_cmp_ne_u32_e32 vcc, s37, v8
                                        ; implicit-def: $vgpr8
	s_and_saveexec_b64 s[20:21], vcc
	s_xor_b64 s[20:21], exec, s[20:21]
; %bb.1319:                             ;   in Loop: Header=BB12_952 Depth=1
	v_bfe_u32 v8, v0, 16, 1
	v_add3_u32 v8, v0, v8, s38
                                        ; implicit-def: $vgpr0
; %bb.1320:                             ;   in Loop: Header=BB12_952 Depth=1
	s_andn2_saveexec_b64 s[20:21], s[20:21]
; %bb.1321:                             ;   in Loop: Header=BB12_952 Depth=1
	v_or_b32_e32 v8, 0x10000, v0
	v_cmp_eq_u32_sdwa vcc, v0, v1 src0_sel:WORD_0 src1_sel:DWORD
	v_cndmask_b32_e32 v8, v8, v0, vcc
; %bb.1322:                             ;   in Loop: Header=BB12_952 Depth=1
	s_or_b64 exec, exec, s[20:21]
	buffer_load_dword v9, off, s[0:3], s33 offset:216 ; 4-byte Folded Reload
	buffer_load_dword v10, off, s[0:3], s33 offset:220 ; 4-byte Folded Reload
	;; [unrolled: 1-line block ×4, first 2 shown]
	v_and_b32_e32 v0, 0xffff0000, v59
	s_waitcnt vmcnt(0)
	v_and_b32_e32 v9, 0xffff0000, v12
	v_add_f32_e32 v0, v9, v0
	v_and_b32_e32 v9, 0x7f800000, v0
	v_cmp_ne_u32_e32 vcc, s37, v9
                                        ; implicit-def: $vgpr9
	s_and_saveexec_b64 s[20:21], vcc
	s_xor_b64 s[20:21], exec, s[20:21]
; %bb.1323:                             ;   in Loop: Header=BB12_952 Depth=1
	v_bfe_u32 v9, v0, 16, 1
	v_add3_u32 v9, v0, v9, s38
                                        ; implicit-def: $vgpr0
; %bb.1324:                             ;   in Loop: Header=BB12_952 Depth=1
	s_andn2_saveexec_b64 s[20:21], s[20:21]
; %bb.1325:                             ;   in Loop: Header=BB12_952 Depth=1
	v_or_b32_e32 v9, 0x10000, v0
	v_cmp_eq_u32_sdwa vcc, v0, v1 src0_sel:WORD_0 src1_sel:DWORD
	v_cndmask_b32_e32 v9, v9, v0, vcc
; %bb.1326:                             ;   in Loop: Header=BB12_952 Depth=1
	s_or_b64 exec, exec, s[20:21]
	buffer_load_dword v10, off, s[0:3], s33 offset:200 ; 4-byte Folded Reload
	buffer_load_dword v11, off, s[0:3], s33 offset:204 ; 4-byte Folded Reload
	;; [unrolled: 1-line block ×4, first 2 shown]
	v_lshlrev_b32_e32 v0, 16, v36
	s_waitcnt vmcnt(3)
	v_lshlrev_b32_e32 v10, 16, v10
	v_add_f32_e32 v0, v10, v0
	v_and_b32_e32 v10, 0x7f800000, v0
	v_cmp_ne_u32_e32 vcc, s37, v10
                                        ; implicit-def: $vgpr10
	s_and_saveexec_b64 s[20:21], vcc
	s_xor_b64 s[20:21], exec, s[20:21]
; %bb.1327:                             ;   in Loop: Header=BB12_952 Depth=1
	v_bfe_u32 v10, v0, 16, 1
	v_add3_u32 v10, v0, v10, s38
                                        ; implicit-def: $vgpr0
; %bb.1328:                             ;   in Loop: Header=BB12_952 Depth=1
	s_andn2_saveexec_b64 s[20:21], s[20:21]
; %bb.1329:                             ;   in Loop: Header=BB12_952 Depth=1
	v_or_b32_e32 v10, 0x10000, v0
	v_cmp_eq_u32_sdwa vcc, v0, v1 src0_sel:WORD_0 src1_sel:DWORD
	v_cndmask_b32_e32 v10, v10, v0, vcc
; %bb.1330:                             ;   in Loop: Header=BB12_952 Depth=1
	s_or_b64 exec, exec, s[20:21]
	buffer_load_dword v18, off, s[0:3], s33 offset:200 ; 4-byte Folded Reload
	buffer_load_dword v19, off, s[0:3], s33 offset:204 ; 4-byte Folded Reload
	;; [unrolled: 1-line block ×4, first 2 shown]
	v_and_b32_e32 v0, 0xffff0000, v36
	s_waitcnt vmcnt(3)
	v_and_b32_e32 v11, 0xffff0000, v18
	v_add_f32_e32 v0, v11, v0
	v_and_b32_e32 v11, 0x7f800000, v0
	v_cmp_ne_u32_e32 vcc, s37, v11
                                        ; implicit-def: $vgpr11
	s_and_saveexec_b64 s[20:21], vcc
	s_xor_b64 s[20:21], exec, s[20:21]
; %bb.1331:                             ;   in Loop: Header=BB12_952 Depth=1
	v_bfe_u32 v11, v0, 16, 1
	v_add3_u32 v11, v0, v11, s38
                                        ; implicit-def: $vgpr0
; %bb.1332:                             ;   in Loop: Header=BB12_952 Depth=1
	s_andn2_saveexec_b64 s[20:21], s[20:21]
; %bb.1333:                             ;   in Loop: Header=BB12_952 Depth=1
	v_or_b32_e32 v11, 0x10000, v0
	v_cmp_eq_u32_sdwa vcc, v0, v1 src0_sel:WORD_0 src1_sel:DWORD
	v_cndmask_b32_e32 v11, v11, v0, vcc
; %bb.1334:                             ;   in Loop: Header=BB12_952 Depth=1
	s_or_b64 exec, exec, s[20:21]
	buffer_load_dword v18, off, s[0:3], s33 offset:200 ; 4-byte Folded Reload
	buffer_load_dword v19, off, s[0:3], s33 offset:204 ; 4-byte Folded Reload
	;; [unrolled: 1-line block ×4, first 2 shown]
	v_lshlrev_b32_e32 v0, 16, v37
	s_waitcnt vmcnt(2)
	v_lshlrev_b32_e32 v12, 16, v19
	v_add_f32_e32 v0, v12, v0
	v_and_b32_e32 v12, 0x7f800000, v0
	v_cmp_ne_u32_e32 vcc, s37, v12
                                        ; implicit-def: $vgpr12
	s_and_saveexec_b64 s[20:21], vcc
	s_xor_b64 s[20:21], exec, s[20:21]
; %bb.1335:                             ;   in Loop: Header=BB12_952 Depth=1
	v_bfe_u32 v12, v0, 16, 1
	v_add3_u32 v12, v0, v12, s38
                                        ; implicit-def: $vgpr0
; %bb.1336:                             ;   in Loop: Header=BB12_952 Depth=1
	s_andn2_saveexec_b64 s[20:21], s[20:21]
; %bb.1337:                             ;   in Loop: Header=BB12_952 Depth=1
	v_or_b32_e32 v12, 0x10000, v0
	v_cmp_eq_u32_sdwa vcc, v0, v1 src0_sel:WORD_0 src1_sel:DWORD
	v_cndmask_b32_e32 v12, v12, v0, vcc
; %bb.1338:                             ;   in Loop: Header=BB12_952 Depth=1
	s_or_b64 exec, exec, s[20:21]
	buffer_load_dword v18, off, s[0:3], s33 offset:200 ; 4-byte Folded Reload
	buffer_load_dword v19, off, s[0:3], s33 offset:204 ; 4-byte Folded Reload
	;; [unrolled: 1-line block ×4, first 2 shown]
	v_and_b32_e32 v0, 0xffff0000, v37
	s_waitcnt vmcnt(2)
	v_and_b32_e32 v13, 0xffff0000, v19
	v_add_f32_e32 v0, v13, v0
	v_and_b32_e32 v13, 0x7f800000, v0
	v_cmp_ne_u32_e32 vcc, s37, v13
                                        ; implicit-def: $vgpr13
	s_and_saveexec_b64 s[20:21], vcc
	s_xor_b64 s[20:21], exec, s[20:21]
; %bb.1339:                             ;   in Loop: Header=BB12_952 Depth=1
	v_bfe_u32 v13, v0, 16, 1
	v_add3_u32 v13, v0, v13, s38
                                        ; implicit-def: $vgpr0
; %bb.1340:                             ;   in Loop: Header=BB12_952 Depth=1
	s_andn2_saveexec_b64 s[20:21], s[20:21]
; %bb.1341:                             ;   in Loop: Header=BB12_952 Depth=1
	v_or_b32_e32 v13, 0x10000, v0
	v_cmp_eq_u32_sdwa vcc, v0, v1 src0_sel:WORD_0 src1_sel:DWORD
	v_cndmask_b32_e32 v13, v13, v0, vcc
; %bb.1342:                             ;   in Loop: Header=BB12_952 Depth=1
	s_or_b64 exec, exec, s[20:21]
	buffer_load_dword v18, off, s[0:3], s33 offset:200 ; 4-byte Folded Reload
	buffer_load_dword v19, off, s[0:3], s33 offset:204 ; 4-byte Folded Reload
	;; [unrolled: 1-line block ×4, first 2 shown]
	v_lshlrev_b32_e32 v0, 16, v38
	s_waitcnt vmcnt(1)
	v_lshlrev_b32_e32 v18, 16, v20
	v_add_f32_e32 v0, v18, v0
	v_and_b32_e32 v18, 0x7f800000, v0
	v_cmp_ne_u32_e32 vcc, s37, v18
                                        ; implicit-def: $vgpr18
	s_and_saveexec_b64 s[20:21], vcc
	s_xor_b64 s[20:21], exec, s[20:21]
; %bb.1343:                             ;   in Loop: Header=BB12_952 Depth=1
	v_bfe_u32 v18, v0, 16, 1
	v_add3_u32 v18, v0, v18, s38
                                        ; implicit-def: $vgpr0
; %bb.1344:                             ;   in Loop: Header=BB12_952 Depth=1
	s_andn2_saveexec_b64 s[20:21], s[20:21]
; %bb.1345:                             ;   in Loop: Header=BB12_952 Depth=1
	v_or_b32_e32 v18, 0x10000, v0
	v_cmp_eq_u32_sdwa vcc, v0, v1 src0_sel:WORD_0 src1_sel:DWORD
	v_cndmask_b32_e32 v18, v18, v0, vcc
; %bb.1346:                             ;   in Loop: Header=BB12_952 Depth=1
	s_or_b64 exec, exec, s[20:21]
	buffer_load_dword v19, off, s[0:3], s33 offset:200 ; 4-byte Folded Reload
	buffer_load_dword v20, off, s[0:3], s33 offset:204 ; 4-byte Folded Reload
	buffer_load_dword v21, off, s[0:3], s33 offset:208 ; 4-byte Folded Reload
	buffer_load_dword v22, off, s[0:3], s33 offset:212 ; 4-byte Folded Reload
	v_and_b32_e32 v0, 0xffff0000, v38
	s_waitcnt vmcnt(1)
	v_and_b32_e32 v19, 0xffff0000, v21
	v_add_f32_e32 v0, v19, v0
	v_and_b32_e32 v19, 0x7f800000, v0
	v_cmp_ne_u32_e32 vcc, s37, v19
                                        ; implicit-def: $vgpr19
	s_and_saveexec_b64 s[20:21], vcc
	s_xor_b64 s[20:21], exec, s[20:21]
; %bb.1347:                             ;   in Loop: Header=BB12_952 Depth=1
	v_bfe_u32 v19, v0, 16, 1
	v_add3_u32 v19, v0, v19, s38
                                        ; implicit-def: $vgpr0
; %bb.1348:                             ;   in Loop: Header=BB12_952 Depth=1
	s_andn2_saveexec_b64 s[20:21], s[20:21]
; %bb.1349:                             ;   in Loop: Header=BB12_952 Depth=1
	v_or_b32_e32 v19, 0x10000, v0
	v_cmp_eq_u32_sdwa vcc, v0, v1 src0_sel:WORD_0 src1_sel:DWORD
	v_cndmask_b32_e32 v19, v19, v0, vcc
; %bb.1350:                             ;   in Loop: Header=BB12_952 Depth=1
	s_or_b64 exec, exec, s[20:21]
	buffer_load_dword v20, off, s[0:3], s33 offset:200 ; 4-byte Folded Reload
	buffer_load_dword v21, off, s[0:3], s33 offset:204 ; 4-byte Folded Reload
	;; [unrolled: 1-line block ×4, first 2 shown]
	v_lshlrev_b32_e32 v0, 16, v39
	s_waitcnt vmcnt(0)
	v_lshlrev_b32_e32 v20, 16, v23
	v_add_f32_e32 v0, v20, v0
	v_and_b32_e32 v20, 0x7f800000, v0
	v_cmp_ne_u32_e32 vcc, s37, v20
                                        ; implicit-def: $vgpr20
	s_and_saveexec_b64 s[20:21], vcc
	s_xor_b64 s[20:21], exec, s[20:21]
; %bb.1351:                             ;   in Loop: Header=BB12_952 Depth=1
	v_bfe_u32 v20, v0, 16, 1
	v_add3_u32 v20, v0, v20, s38
                                        ; implicit-def: $vgpr0
; %bb.1352:                             ;   in Loop: Header=BB12_952 Depth=1
	s_andn2_saveexec_b64 s[20:21], s[20:21]
; %bb.1353:                             ;   in Loop: Header=BB12_952 Depth=1
	v_or_b32_e32 v20, 0x10000, v0
	v_cmp_eq_u32_sdwa vcc, v0, v1 src0_sel:WORD_0 src1_sel:DWORD
	v_cndmask_b32_e32 v20, v20, v0, vcc
; %bb.1354:                             ;   in Loop: Header=BB12_952 Depth=1
	s_or_b64 exec, exec, s[20:21]
	buffer_load_dword v21, off, s[0:3], s33 offset:200 ; 4-byte Folded Reload
	buffer_load_dword v22, off, s[0:3], s33 offset:204 ; 4-byte Folded Reload
	;; [unrolled: 1-line block ×4, first 2 shown]
	v_and_b32_e32 v0, 0xffff0000, v39
	s_waitcnt vmcnt(0)
	v_and_b32_e32 v21, 0xffff0000, v24
	v_add_f32_e32 v0, v21, v0
	v_and_b32_e32 v21, 0x7f800000, v0
	v_cmp_ne_u32_e32 vcc, s37, v21
                                        ; implicit-def: $vgpr21
	s_and_saveexec_b64 s[20:21], vcc
	s_xor_b64 s[20:21], exec, s[20:21]
; %bb.1355:                             ;   in Loop: Header=BB12_952 Depth=1
	v_bfe_u32 v21, v0, 16, 1
	v_add3_u32 v21, v0, v21, s38
                                        ; implicit-def: $vgpr0
; %bb.1356:                             ;   in Loop: Header=BB12_952 Depth=1
	s_andn2_saveexec_b64 s[20:21], s[20:21]
; %bb.1357:                             ;   in Loop: Header=BB12_952 Depth=1
	v_or_b32_e32 v21, 0x10000, v0
	v_cmp_eq_u32_sdwa vcc, v0, v1 src0_sel:WORD_0 src1_sel:DWORD
	v_cndmask_b32_e32 v21, v21, v0, vcc
; %bb.1358:                             ;   in Loop: Header=BB12_952 Depth=1
	s_or_b64 exec, exec, s[20:21]
	buffer_load_dword v22, off, s[0:3], s33 offset:184 ; 4-byte Folded Reload
	buffer_load_dword v23, off, s[0:3], s33 offset:188 ; 4-byte Folded Reload
	buffer_load_dword v24, off, s[0:3], s33 offset:192 ; 4-byte Folded Reload
	buffer_load_dword v25, off, s[0:3], s33 offset:196 ; 4-byte Folded Reload
	v_lshlrev_b32_e32 v0, 16, v26
	s_waitcnt vmcnt(3)
	v_lshlrev_b32_e32 v22, 16, v22
	v_add_f32_e32 v0, v22, v0
	v_and_b32_e32 v22, 0x7f800000, v0
	v_cmp_ne_u32_e32 vcc, s37, v22
                                        ; implicit-def: $vgpr22
	s_and_saveexec_b64 s[20:21], vcc
	s_xor_b64 s[20:21], exec, s[20:21]
; %bb.1359:                             ;   in Loop: Header=BB12_952 Depth=1
	v_bfe_u32 v22, v0, 16, 1
	v_add3_u32 v22, v0, v22, s38
                                        ; implicit-def: $vgpr0
; %bb.1360:                             ;   in Loop: Header=BB12_952 Depth=1
	s_andn2_saveexec_b64 s[20:21], s[20:21]
; %bb.1361:                             ;   in Loop: Header=BB12_952 Depth=1
	v_or_b32_e32 v22, 0x10000, v0
	v_cmp_eq_u32_sdwa vcc, v0, v1 src0_sel:WORD_0 src1_sel:DWORD
	v_cndmask_b32_e32 v22, v22, v0, vcc
; %bb.1362:                             ;   in Loop: Header=BB12_952 Depth=1
	s_or_b64 exec, exec, s[20:21]
	v_and_b32_e32 v0, 0xffff0000, v26
	buffer_load_dword v23, off, s[0:3], s33 offset:184 ; 4-byte Folded Reload
	buffer_load_dword v24, off, s[0:3], s33 offset:188 ; 4-byte Folded Reload
	;; [unrolled: 1-line block ×4, first 2 shown]
	s_waitcnt vmcnt(3)
	v_and_b32_e32 v23, 0xffff0000, v23
	v_add_f32_e32 v0, v23, v0
	v_and_b32_e32 v23, 0x7f800000, v0
	v_cmp_ne_u32_e32 vcc, s37, v23
                                        ; implicit-def: $vgpr23
	s_and_saveexec_b64 s[20:21], vcc
	s_xor_b64 s[20:21], exec, s[20:21]
; %bb.1363:                             ;   in Loop: Header=BB12_952 Depth=1
	v_bfe_u32 v23, v0, 16, 1
	v_add3_u32 v23, v0, v23, s38
                                        ; implicit-def: $vgpr0
; %bb.1364:                             ;   in Loop: Header=BB12_952 Depth=1
	s_andn2_saveexec_b64 s[20:21], s[20:21]
; %bb.1365:                             ;   in Loop: Header=BB12_952 Depth=1
	v_or_b32_e32 v23, 0x10000, v0
	v_cmp_eq_u32_sdwa vcc, v0, v1 src0_sel:WORD_0 src1_sel:DWORD
	v_cndmask_b32_e32 v23, v23, v0, vcc
; %bb.1366:                             ;   in Loop: Header=BB12_952 Depth=1
	s_or_b64 exec, exec, s[20:21]
	buffer_load_dword v32, off, s[0:3], s33 offset:184 ; 4-byte Folded Reload
	buffer_load_dword v33, off, s[0:3], s33 offset:188 ; 4-byte Folded Reload
	;; [unrolled: 1-line block ×4, first 2 shown]
	v_lshlrev_b32_e32 v0, 16, v27
	s_waitcnt vmcnt(2)
	v_lshlrev_b32_e32 v24, 16, v33
	v_add_f32_e32 v0, v24, v0
	v_and_b32_e32 v24, 0x7f800000, v0
	v_cmp_ne_u32_e32 vcc, s37, v24
                                        ; implicit-def: $vgpr24
	s_and_saveexec_b64 s[20:21], vcc
	s_xor_b64 s[20:21], exec, s[20:21]
; %bb.1367:                             ;   in Loop: Header=BB12_952 Depth=1
	v_bfe_u32 v24, v0, 16, 1
	v_add3_u32 v24, v0, v24, s38
                                        ; implicit-def: $vgpr0
; %bb.1368:                             ;   in Loop: Header=BB12_952 Depth=1
	s_andn2_saveexec_b64 s[20:21], s[20:21]
; %bb.1369:                             ;   in Loop: Header=BB12_952 Depth=1
	v_or_b32_e32 v24, 0x10000, v0
	v_cmp_eq_u32_sdwa vcc, v0, v1 src0_sel:WORD_0 src1_sel:DWORD
	v_cndmask_b32_e32 v24, v24, v0, vcc
; %bb.1370:                             ;   in Loop: Header=BB12_952 Depth=1
	s_or_b64 exec, exec, s[20:21]
	buffer_load_dword v32, off, s[0:3], s33 offset:184 ; 4-byte Folded Reload
	buffer_load_dword v33, off, s[0:3], s33 offset:188 ; 4-byte Folded Reload
	;; [unrolled: 1-line block ×4, first 2 shown]
	v_and_b32_e32 v0, 0xffff0000, v27
	s_waitcnt vmcnt(2)
	v_and_b32_e32 v25, 0xffff0000, v33
	v_add_f32_e32 v0, v25, v0
	v_and_b32_e32 v25, 0x7f800000, v0
	v_cmp_ne_u32_e32 vcc, s37, v25
                                        ; implicit-def: $vgpr25
	s_and_saveexec_b64 s[20:21], vcc
	s_xor_b64 s[20:21], exec, s[20:21]
; %bb.1371:                             ;   in Loop: Header=BB12_952 Depth=1
	v_bfe_u32 v25, v0, 16, 1
	v_add3_u32 v25, v0, v25, s38
                                        ; implicit-def: $vgpr0
; %bb.1372:                             ;   in Loop: Header=BB12_952 Depth=1
	s_andn2_saveexec_b64 s[20:21], s[20:21]
; %bb.1373:                             ;   in Loop: Header=BB12_952 Depth=1
	v_or_b32_e32 v25, 0x10000, v0
	v_cmp_eq_u32_sdwa vcc, v0, v1 src0_sel:WORD_0 src1_sel:DWORD
	v_cndmask_b32_e32 v25, v25, v0, vcc
; %bb.1374:                             ;   in Loop: Header=BB12_952 Depth=1
	s_or_b64 exec, exec, s[20:21]
	buffer_load_dword v32, off, s[0:3], s33 offset:184 ; 4-byte Folded Reload
	buffer_load_dword v33, off, s[0:3], s33 offset:188 ; 4-byte Folded Reload
	;; [unrolled: 1-line block ×4, first 2 shown]
	v_lshlrev_b32_e32 v0, 16, v28
	s_waitcnt vmcnt(1)
	v_lshlrev_b32_e32 v26, 16, v34
	v_add_f32_e32 v0, v26, v0
	v_and_b32_e32 v26, 0x7f800000, v0
	v_cmp_ne_u32_e32 vcc, s37, v26
                                        ; implicit-def: $vgpr26
	s_and_saveexec_b64 s[20:21], vcc
	s_xor_b64 s[20:21], exec, s[20:21]
; %bb.1375:                             ;   in Loop: Header=BB12_952 Depth=1
	v_bfe_u32 v26, v0, 16, 1
	v_add3_u32 v26, v0, v26, s38
                                        ; implicit-def: $vgpr0
; %bb.1376:                             ;   in Loop: Header=BB12_952 Depth=1
	s_andn2_saveexec_b64 s[20:21], s[20:21]
; %bb.1377:                             ;   in Loop: Header=BB12_952 Depth=1
	v_or_b32_e32 v26, 0x10000, v0
	v_cmp_eq_u32_sdwa vcc, v0, v1 src0_sel:WORD_0 src1_sel:DWORD
	v_cndmask_b32_e32 v26, v26, v0, vcc
; %bb.1378:                             ;   in Loop: Header=BB12_952 Depth=1
	s_or_b64 exec, exec, s[20:21]
	buffer_load_dword v32, off, s[0:3], s33 offset:184 ; 4-byte Folded Reload
	buffer_load_dword v33, off, s[0:3], s33 offset:188 ; 4-byte Folded Reload
	;; [unrolled: 1-line block ×4, first 2 shown]
	v_and_b32_e32 v0, 0xffff0000, v28
	s_waitcnt vmcnt(1)
	v_and_b32_e32 v27, 0xffff0000, v34
	v_add_f32_e32 v0, v27, v0
	v_and_b32_e32 v27, 0x7f800000, v0
	v_cmp_ne_u32_e32 vcc, s37, v27
                                        ; implicit-def: $vgpr27
	s_and_saveexec_b64 s[20:21], vcc
	s_xor_b64 s[20:21], exec, s[20:21]
; %bb.1379:                             ;   in Loop: Header=BB12_952 Depth=1
	v_bfe_u32 v27, v0, 16, 1
	v_add3_u32 v27, v0, v27, s38
                                        ; implicit-def: $vgpr0
; %bb.1380:                             ;   in Loop: Header=BB12_952 Depth=1
	s_andn2_saveexec_b64 s[20:21], s[20:21]
; %bb.1381:                             ;   in Loop: Header=BB12_952 Depth=1
	v_or_b32_e32 v27, 0x10000, v0
	v_cmp_eq_u32_sdwa vcc, v0, v1 src0_sel:WORD_0 src1_sel:DWORD
	v_cndmask_b32_e32 v27, v27, v0, vcc
; %bb.1382:                             ;   in Loop: Header=BB12_952 Depth=1
	s_or_b64 exec, exec, s[20:21]
	buffer_load_dword v32, off, s[0:3], s33 offset:184 ; 4-byte Folded Reload
	buffer_load_dword v33, off, s[0:3], s33 offset:188 ; 4-byte Folded Reload
	;; [unrolled: 1-line block ×4, first 2 shown]
	v_lshlrev_b32_e32 v0, 16, v29
	s_waitcnt vmcnt(0)
	v_lshlrev_b32_e32 v28, 16, v35
	v_add_f32_e32 v0, v28, v0
	v_and_b32_e32 v28, 0x7f800000, v0
	v_cmp_ne_u32_e32 vcc, s37, v28
                                        ; implicit-def: $vgpr28
	s_and_saveexec_b64 s[20:21], vcc
	s_xor_b64 s[20:21], exec, s[20:21]
; %bb.1383:                             ;   in Loop: Header=BB12_952 Depth=1
	v_bfe_u32 v28, v0, 16, 1
	v_add3_u32 v28, v0, v28, s38
                                        ; implicit-def: $vgpr0
; %bb.1384:                             ;   in Loop: Header=BB12_952 Depth=1
	s_andn2_saveexec_b64 s[20:21], s[20:21]
; %bb.1385:                             ;   in Loop: Header=BB12_952 Depth=1
	v_or_b32_e32 v28, 0x10000, v0
	v_cmp_eq_u32_sdwa vcc, v0, v1 src0_sel:WORD_0 src1_sel:DWORD
	v_cndmask_b32_e32 v28, v28, v0, vcc
; %bb.1386:                             ;   in Loop: Header=BB12_952 Depth=1
	s_or_b64 exec, exec, s[20:21]
	buffer_load_dword v32, off, s[0:3], s33 offset:184 ; 4-byte Folded Reload
	buffer_load_dword v33, off, s[0:3], s33 offset:188 ; 4-byte Folded Reload
	;; [unrolled: 1-line block ×4, first 2 shown]
	v_and_b32_e32 v0, 0xffff0000, v29
	s_waitcnt vmcnt(0)
	v_and_b32_e32 v29, 0xffff0000, v35
	v_add_f32_e32 v0, v29, v0
	v_and_b32_e32 v29, 0x7f800000, v0
	v_cmp_ne_u32_e32 vcc, s37, v29
                                        ; implicit-def: $vgpr29
	s_and_saveexec_b64 s[20:21], vcc
	s_xor_b64 s[20:21], exec, s[20:21]
; %bb.1387:                             ;   in Loop: Header=BB12_952 Depth=1
	v_bfe_u32 v29, v0, 16, 1
	v_add3_u32 v29, v0, v29, s38
                                        ; implicit-def: $vgpr0
; %bb.1388:                             ;   in Loop: Header=BB12_952 Depth=1
	s_andn2_saveexec_b64 s[20:21], s[20:21]
; %bb.1389:                             ;   in Loop: Header=BB12_952 Depth=1
	v_or_b32_e32 v29, 0x10000, v0
	v_cmp_eq_u32_sdwa vcc, v0, v1 src0_sel:WORD_0 src1_sel:DWORD
	v_cndmask_b32_e32 v29, v29, v0, vcc
; %bb.1390:                             ;   in Loop: Header=BB12_952 Depth=1
	s_or_b64 exec, exec, s[20:21]
	buffer_load_dword v32, off, s[0:3], s33 offset:168 ; 4-byte Folded Reload
	buffer_load_dword v33, off, s[0:3], s33 offset:172 ; 4-byte Folded Reload
	;; [unrolled: 1-line block ×4, first 2 shown]
	v_lshlrev_b32_e32 v0, 16, v14
	s_waitcnt vmcnt(3)
	v_lshlrev_b32_e32 v32, 16, v32
	v_add_f32_e32 v0, v32, v0
	v_and_b32_e32 v32, 0x7f800000, v0
	v_cmp_ne_u32_e32 vcc, s37, v32
                                        ; implicit-def: $vgpr32
	s_and_saveexec_b64 s[20:21], vcc
	s_xor_b64 s[20:21], exec, s[20:21]
; %bb.1391:                             ;   in Loop: Header=BB12_952 Depth=1
	v_bfe_u32 v32, v0, 16, 1
	v_add3_u32 v32, v0, v32, s38
                                        ; implicit-def: $vgpr0
; %bb.1392:                             ;   in Loop: Header=BB12_952 Depth=1
	s_andn2_saveexec_b64 s[20:21], s[20:21]
; %bb.1393:                             ;   in Loop: Header=BB12_952 Depth=1
	v_or_b32_e32 v32, 0x10000, v0
	v_cmp_eq_u32_sdwa vcc, v0, v1 src0_sel:WORD_0 src1_sel:DWORD
	v_cndmask_b32_e32 v32, v32, v0, vcc
; %bb.1394:                             ;   in Loop: Header=BB12_952 Depth=1
	s_or_b64 exec, exec, s[20:21]
	buffer_load_dword v33, off, s[0:3], s33 offset:168 ; 4-byte Folded Reload
	buffer_load_dword v34, off, s[0:3], s33 offset:172 ; 4-byte Folded Reload
	;; [unrolled: 1-line block ×4, first 2 shown]
	v_and_b32_e32 v0, 0xffff0000, v14
	s_waitcnt vmcnt(3)
	v_and_b32_e32 v14, 0xffff0000, v33
	v_add_f32_e32 v0, v14, v0
	v_and_b32_e32 v14, 0x7f800000, v0
	v_cmp_ne_u32_e32 vcc, s37, v14
                                        ; implicit-def: $vgpr14
	s_and_saveexec_b64 s[20:21], vcc
	s_xor_b64 s[20:21], exec, s[20:21]
; %bb.1395:                             ;   in Loop: Header=BB12_952 Depth=1
	v_bfe_u32 v14, v0, 16, 1
	v_add3_u32 v14, v0, v14, s38
                                        ; implicit-def: $vgpr0
; %bb.1396:                             ;   in Loop: Header=BB12_952 Depth=1
	s_andn2_saveexec_b64 s[20:21], s[20:21]
; %bb.1397:                             ;   in Loop: Header=BB12_952 Depth=1
	v_or_b32_e32 v14, 0x10000, v0
	v_cmp_eq_u32_sdwa vcc, v0, v1 src0_sel:WORD_0 src1_sel:DWORD
	v_cndmask_b32_e32 v14, v14, v0, vcc
; %bb.1398:                             ;   in Loop: Header=BB12_952 Depth=1
	s_or_b64 exec, exec, s[20:21]
	buffer_load_dword v33, off, s[0:3], s33 offset:168 ; 4-byte Folded Reload
	buffer_load_dword v34, off, s[0:3], s33 offset:172 ; 4-byte Folded Reload
	;; [unrolled: 1-line block ×4, first 2 shown]
	v_lshlrev_b32_e32 v0, 16, v15
	s_waitcnt vmcnt(2)
	v_lshlrev_b32_e32 v33, 16, v34
	v_add_f32_e32 v33, v33, v0
	v_and_b32_e32 v0, 0x7f800000, v33
	v_cmp_ne_u32_e32 vcc, s37, v0
                                        ; implicit-def: $vgpr0
	s_and_saveexec_b64 s[20:21], vcc
	s_xor_b64 s[20:21], exec, s[20:21]
; %bb.1399:                             ;   in Loop: Header=BB12_952 Depth=1
	v_bfe_u32 v0, v33, 16, 1
	v_add3_u32 v0, v33, v0, s38
                                        ; implicit-def: $vgpr33
; %bb.1400:                             ;   in Loop: Header=BB12_952 Depth=1
	s_andn2_saveexec_b64 s[20:21], s[20:21]
; %bb.1401:                             ;   in Loop: Header=BB12_952 Depth=1
	v_or_b32_e32 v0, 0x10000, v33
	v_cmp_eq_u32_sdwa vcc, v33, v1 src0_sel:WORD_0 src1_sel:DWORD
	v_cndmask_b32_e32 v0, v0, v33, vcc
; %bb.1402:                             ;   in Loop: Header=BB12_952 Depth=1
	s_or_b64 exec, exec, s[20:21]
	buffer_load_dword v33, off, s[0:3], s33 offset:168 ; 4-byte Folded Reload
	buffer_load_dword v34, off, s[0:3], s33 offset:172 ; 4-byte Folded Reload
	buffer_load_dword v35, off, s[0:3], s33 offset:176 ; 4-byte Folded Reload
	buffer_load_dword v36, off, s[0:3], s33 offset:180 ; 4-byte Folded Reload
	v_and_b32_e32 v15, 0xffff0000, v15
	s_waitcnt vmcnt(2)
	v_and_b32_e32 v33, 0xffff0000, v34
	v_add_f32_e32 v33, v33, v15
	v_and_b32_e32 v15, 0x7f800000, v33
	v_cmp_ne_u32_e32 vcc, s37, v15
                                        ; implicit-def: $vgpr15
	s_and_saveexec_b64 s[20:21], vcc
	s_xor_b64 s[20:21], exec, s[20:21]
; %bb.1403:                             ;   in Loop: Header=BB12_952 Depth=1
	v_bfe_u32 v15, v33, 16, 1
	v_add3_u32 v15, v33, v15, s38
                                        ; implicit-def: $vgpr33
; %bb.1404:                             ;   in Loop: Header=BB12_952 Depth=1
	s_andn2_saveexec_b64 s[20:21], s[20:21]
; %bb.1405:                             ;   in Loop: Header=BB12_952 Depth=1
	v_or_b32_e32 v15, 0x10000, v33
	v_cmp_eq_u32_sdwa vcc, v33, v1 src0_sel:WORD_0 src1_sel:DWORD
	v_cndmask_b32_e32 v15, v15, v33, vcc
; %bb.1406:                             ;   in Loop: Header=BB12_952 Depth=1
	s_or_b64 exec, exec, s[20:21]
	buffer_load_dword v34, off, s[0:3], s33 offset:168 ; 4-byte Folded Reload
	buffer_load_dword v35, off, s[0:3], s33 offset:172 ; 4-byte Folded Reload
	;; [unrolled: 1-line block ×4, first 2 shown]
	v_lshlrev_b32_e32 v33, 16, v16
	s_waitcnt vmcnt(1)
	v_lshlrev_b32_e32 v34, 16, v36
	v_add_f32_e32 v34, v34, v33
	v_and_b32_e32 v33, 0x7f800000, v34
	v_cmp_ne_u32_e32 vcc, s37, v33
                                        ; implicit-def: $vgpr33
	s_and_saveexec_b64 s[20:21], vcc
	s_xor_b64 s[20:21], exec, s[20:21]
; %bb.1407:                             ;   in Loop: Header=BB12_952 Depth=1
	v_bfe_u32 v33, v34, 16, 1
	v_add3_u32 v33, v34, v33, s38
                                        ; implicit-def: $vgpr34
; %bb.1408:                             ;   in Loop: Header=BB12_952 Depth=1
	s_andn2_saveexec_b64 s[20:21], s[20:21]
; %bb.1409:                             ;   in Loop: Header=BB12_952 Depth=1
	v_or_b32_e32 v33, 0x10000, v34
	v_cmp_eq_u32_sdwa vcc, v34, v1 src0_sel:WORD_0 src1_sel:DWORD
	v_cndmask_b32_e32 v33, v33, v34, vcc
; %bb.1410:                             ;   in Loop: Header=BB12_952 Depth=1
	s_or_b64 exec, exec, s[20:21]
	buffer_load_dword v34, off, s[0:3], s33 offset:168 ; 4-byte Folded Reload
	buffer_load_dword v35, off, s[0:3], s33 offset:172 ; 4-byte Folded Reload
	;; [unrolled: 1-line block ×4, first 2 shown]
	v_and_b32_e32 v16, 0xffff0000, v16
	s_waitcnt vmcnt(1)
	v_and_b32_e32 v34, 0xffff0000, v36
	v_add_f32_e32 v34, v34, v16
	v_and_b32_e32 v16, 0x7f800000, v34
	v_cmp_ne_u32_e32 vcc, s37, v16
                                        ; implicit-def: $vgpr16
	s_and_saveexec_b64 s[20:21], vcc
	s_xor_b64 s[20:21], exec, s[20:21]
; %bb.1411:                             ;   in Loop: Header=BB12_952 Depth=1
	v_bfe_u32 v16, v34, 16, 1
	v_add3_u32 v16, v34, v16, s38
                                        ; implicit-def: $vgpr34
; %bb.1412:                             ;   in Loop: Header=BB12_952 Depth=1
	s_andn2_saveexec_b64 s[20:21], s[20:21]
; %bb.1413:                             ;   in Loop: Header=BB12_952 Depth=1
	v_or_b32_e32 v16, 0x10000, v34
	v_cmp_eq_u32_sdwa vcc, v34, v1 src0_sel:WORD_0 src1_sel:DWORD
	v_cndmask_b32_e32 v16, v16, v34, vcc
; %bb.1414:                             ;   in Loop: Header=BB12_952 Depth=1
	s_or_b64 exec, exec, s[20:21]
	buffer_load_dword v35, off, s[0:3], s33 offset:168 ; 4-byte Folded Reload
	buffer_load_dword v36, off, s[0:3], s33 offset:172 ; 4-byte Folded Reload
	;; [unrolled: 1-line block ×4, first 2 shown]
	v_lshlrev_b32_e32 v34, 16, v17
	s_waitcnt vmcnt(0)
	v_lshlrev_b32_e32 v35, 16, v38
	v_add_f32_e32 v35, v35, v34
	v_and_b32_e32 v34, 0x7f800000, v35
	v_cmp_ne_u32_e32 vcc, s37, v34
                                        ; implicit-def: $vgpr34
	s_and_saveexec_b64 s[20:21], vcc
	s_xor_b64 s[20:21], exec, s[20:21]
; %bb.1415:                             ;   in Loop: Header=BB12_952 Depth=1
	v_bfe_u32 v34, v35, 16, 1
	v_add3_u32 v34, v35, v34, s38
                                        ; implicit-def: $vgpr35
; %bb.1416:                             ;   in Loop: Header=BB12_952 Depth=1
	s_andn2_saveexec_b64 s[20:21], s[20:21]
; %bb.1417:                             ;   in Loop: Header=BB12_952 Depth=1
	v_or_b32_e32 v34, 0x10000, v35
	v_cmp_eq_u32_sdwa vcc, v35, v1 src0_sel:WORD_0 src1_sel:DWORD
	v_cndmask_b32_e32 v34, v34, v35, vcc
; %bb.1418:                             ;   in Loop: Header=BB12_952 Depth=1
	s_or_b64 exec, exec, s[20:21]
	buffer_load_dword v35, off, s[0:3], s33 offset:168 ; 4-byte Folded Reload
	buffer_load_dword v36, off, s[0:3], s33 offset:172 ; 4-byte Folded Reload
	;; [unrolled: 1-line block ×4, first 2 shown]
	v_and_b32_e32 v17, 0xffff0000, v17
	s_waitcnt vmcnt(0)
	v_and_b32_e32 v35, 0xffff0000, v38
	v_add_f32_e32 v35, v35, v17
	v_and_b32_e32 v17, 0x7f800000, v35
	v_cmp_ne_u32_e32 vcc, s37, v17
                                        ; implicit-def: $vgpr17
	s_and_saveexec_b64 s[20:21], vcc
	s_xor_b64 s[20:21], exec, s[20:21]
; %bb.1419:                             ;   in Loop: Header=BB12_952 Depth=1
	v_bfe_u32 v17, v35, 16, 1
	v_add3_u32 v17, v35, v17, s38
                                        ; implicit-def: $vgpr35
; %bb.1420:                             ;   in Loop: Header=BB12_952 Depth=1
	s_andn2_saveexec_b64 s[20:21], s[20:21]
; %bb.1421:                             ;   in Loop: Header=BB12_952 Depth=1
	v_or_b32_e32 v17, 0x10000, v35
	v_cmp_eq_u32_sdwa vcc, v35, v1 src0_sel:WORD_0 src1_sel:DWORD
	v_cndmask_b32_e32 v17, v17, v35, vcc
; %bb.1422:                             ;   in Loop: Header=BB12_952 Depth=1
	s_or_b64 exec, exec, s[20:21]
	v_lshrrev_b32_e32 v2, 16, v2
	v_lshrrev_b32_e32 v4, 16, v4
	v_and_or_b32 v3, v3, s39, v2
	v_lshrrev_b32_e32 v2, 16, v6
	v_lshrrev_b32_e32 v0, 16, v0
	;; [unrolled: 1-line block ×4, first 2 shown]
	v_and_or_b32 v4, v5, s39, v4
	v_and_or_b32 v5, v7, s39, v2
	v_lshrrev_b32_e32 v2, 16, v8
	v_and_or_b32 v8, v15, s39, v0
	v_lshrrev_b32_e32 v0, 16, v32
	v_lshrrev_b32_e32 v24, 16, v24
	v_and_or_b32 v23, v23, s39, v22
	v_lshrrev_b32_e32 v22, 16, v26
	v_and_or_b32 v35, v11, s39, v10
	;; [unrolled: 2-line block ×4, first 2 shown]
	v_and_or_b32 v25, v27, s39, v22
	v_lshrrev_b32_e32 v22, 16, v28
	v_lshrrev_b32_e32 v12, 16, v12
	v_and_or_b32 v37, v19, s39, v10
	v_lshrrev_b32_e32 v10, 16, v20
	v_and_or_b32 v6, v9, s39, v2
	v_and_or_b32 v9, v16, s39, v0
	v_lshrrev_b32_e32 v0, 16, v34
	v_and_or_b32 v26, v29, s39, v22
	v_and_or_b32 v36, v13, s39, v12
	;; [unrolled: 1-line block ×4, first 2 shown]
	global_store_dwordx4 v[30:31], v[3:6], off glc slc
	global_store_dwordx4 v[30:31], v[35:38], off offset:1024 glc slc
	global_store_dwordx4 v[30:31], v[23:26], off offset:2048 glc slc
	;; [unrolled: 1-line block ×3, first 2 shown]
.LBB12_1423:                            ;   in Loop: Header=BB12_952 Depth=1
	s_or_b64 exec, exec, s[18:19]
	buffer_load_dword v0, off, s[0:3], s33 offset:500 ; 4-byte Folded Reload
                                        ; implicit-def: $vgpr8
                                        ; implicit-def: $vgpr9
                                        ; implicit-def: $vgpr2
	s_waitcnt vmcnt(0)
	v_lshlrev_b32_e32 v4, 12, v0
	v_cmp_ne_u32_e32 vcc, v54, v4
	s_mov_b64 s[60:61], exec
	buffer_load_dword v28, off, s[0:3], s33 offset:480 ; 4-byte Folded Reload
	buffer_load_dword v31, off, s[0:3], s33 offset:484 ; 4-byte Folded Reload
	;; [unrolled: 1-line block ×3, first 2 shown]
	s_and_b64 s[18:19], s[60:61], vcc
	s_mov_b64 exec, s[18:19]
	s_cbranch_execz .LBB12_1538
; %bb.1424:                             ;   in Loop: Header=BB12_952 Depth=1
	buffer_load_dword v0, off, s[0:3], s33 offset:248 ; 4-byte Folded Reload
	buffer_load_dword v3, off, s[0:3], s33 offset:504 ; 4-byte Folded Reload
	v_sub_u32_e32 v2, v54, v4
	s_mov_b64 s[72:73], 0
	s_waitcnt vmcnt(1)
	v_lshlrev_b32_e32 v0, 6, v0
	s_waitcnt vmcnt(0)
	v_sub_u32_e32 v0, v3, v0
	v_ashrrev_i32_e32 v3, 31, v0
	v_lshrrev_b32_e32 v3, 26, v3
	v_add_u32_e32 v3, v0, v3
	v_ashrrev_i32_e32 v7, 6, v3
	v_and_b32_e32 v3, 0xffffffc0, v3
	v_sub_u32_e32 v0, v0, v3
	v_lshlrev_b32_e32 v3, 4, v0
	v_lshl_add_u32 v3, v7, 10, v3
	v_add_u32_e32 v11, v3, v4
	v_sub_u32_e32 v8, v2, v3
	v_ashrrev_i32_e32 v3, 31, v2
	v_lshrrev_b32_e32 v3, 22, v3
	v_add_u32_e32 v3, v2, v3
	v_and_b32_e32 v5, 0xfffffc00, v3
	v_sub_u32_e32 v6, v2, v5
	v_ashrrev_i32_e32 v9, 10, v3
	v_cmp_lt_i32_e64 s[18:19], 15, v6
	v_addc_co_u32_e64 v2, vcc, 0, v9, s[18:19]
	v_ashrrev_i32_e32 v12, 31, v11
	v_sub_u32_e32 v7, v2, v7
	v_add_co_u32_e32 v2, vcc, v11, v31
	v_addc_co_u32_e32 v3, vcc, v12, v32, vcc
	v_cmp_lt_i32_e32 vcc, 15, v8
	s_and_saveexec_b64 s[62:63], vcc
	s_cbranch_execz .LBB12_1501
; %bb.1425:                             ;   in Loop: Header=BB12_952 Depth=1
	s_trap 2
	ds_read_b64 v[13:14], v0
	buffer_load_dword v9, off, s[0:3], s33 offset:428 ; 4-byte Folded Reload
	buffer_load_dword v10, off, s[0:3], s33 offset:432 ; 4-byte Folded Reload
	s_mov_b64 s[76:77], 0
                                        ; implicit-def: $sgpr74_sgpr75
	s_waitcnt vmcnt(1)
	v_add_co_u32_e32 v9, vcc, v11, v9
	s_waitcnt vmcnt(0)
	v_addc_co_u32_e32 v10, vcc, v12, v10, vcc
	s_waitcnt lgkmcnt(0)
	v_add_co_u32_e32 v11, vcc, v13, v11
	v_addc_co_u32_e32 v12, vcc, v14, v12, vcc
	s_branch .LBB12_1427
.LBB12_1426:                            ;   in Loop: Header=BB12_1427 Depth=2
	s_or_b64 exec, exec, s[20:21]
	v_cmp_gt_i32_e32 vcc, 16, v8
	s_or_b64 s[72:73], vcc, s[72:73]
	s_andn2_b64 s[20:21], s[74:75], exec
	s_and_b64 s[74:75], s[76:77], exec
	s_or_b64 s[74:75], s[20:21], s[74:75]
	s_andn2_b64 exec, exec, s[72:73]
	s_cbranch_execz .LBB12_1500
.LBB12_1427:                            ;   Parent Loop BB12_952 Depth=1
                                        ; =>  This Loop Header: Depth=2
                                        ;       Child Loop BB12_1428 Depth 3
                                        ;       Child Loop BB12_1465 Depth 3
	s_lshr_b32 s90, s33, 6
	s_add_i32 s90, s90, 64
	s_mov_b64 s[78:79], -1
	s_mov_b64 s[88:89], 0
.LBB12_1428:                            ;   Parent Loop BB12_952 Depth=1
                                        ;     Parent Loop BB12_1427 Depth=2
                                        ; =>    This Inner Loop Header: Depth=3
	s_cmp_eq_u32 s88, 1
	s_cselect_b64 s[20:21], -1, 0
	v_cndmask_b32_e64 v18, v10, v12, s[20:21]
	v_cndmask_b32_e64 v17, v9, v11, s[20:21]
	global_load_dwordx4 v[13:16], v[17:18], off glc slc
	v_mov_b32_e32 v19, s90
	s_cmp_eq_u32 s88, 0
	s_mov_b64 s[88:89], 1
	s_mov_b32 s90, s34
	s_waitcnt vmcnt(0)
	buffer_store_dword v14, v19, s[0:3], 0 offen offset:4
	buffer_store_dword v13, v19, s[0:3], 0 offen
	buffer_store_dword v16, v19, s[0:3], 0 offen offset:12
	buffer_store_dword v15, v19, s[0:3], 0 offen offset:8
	v_add_co_u32_e32 v13, vcc, s35, v17
	v_addc_co_u32_e32 v14, vcc, 0, v18, vcc
	s_cselect_b64 vcc, -1, 0
	v_cndmask_b32_e32 v10, v10, v14, vcc
	v_cndmask_b32_e32 v9, v9, v13, vcc
	v_cndmask_b32_e64 v12, v12, v14, s[20:21]
	v_cndmask_b32_e64 v11, v11, v13, s[20:21]
	s_and_b64 vcc, exec, s[78:79]
	s_mov_b64 s[78:79], 0
	s_cbranch_vccnz .LBB12_1428
; %bb.1429:                             ;   in Loop: Header=BB12_1427 Depth=2
	s_and_saveexec_b64 s[20:21], s[76:77]
	s_cbranch_execz .LBB12_1463
; %bb.1430:                             ;   in Loop: Header=BB12_1427 Depth=2
	buffer_load_dword v16, off, s[0:3], s33 offset:96
	buffer_load_dword v20, off, s[0:3], s33 offset:100
	;; [unrolled: 1-line block ×8, first 2 shown]
	s_waitcnt vmcnt(7)
	v_lshlrev_b32_e32 v13, 16, v16
	s_waitcnt vmcnt(4)
	v_lshlrev_b32_e32 v22, 16, v17
	v_add_f32_e32 v22, v13, v22
	v_and_b32_e32 v13, 0x7f800000, v22
	v_cmp_ne_u32_e32 vcc, s37, v13
                                        ; implicit-def: $vgpr13
	s_and_saveexec_b64 s[76:77], vcc
	s_xor_b64 s[76:77], exec, s[76:77]
; %bb.1431:                             ;   in Loop: Header=BB12_1427 Depth=2
	v_bfe_u32 v13, v22, 16, 1
	v_add3_u32 v13, v22, v13, s38
                                        ; implicit-def: $vgpr22
; %bb.1432:                             ;   in Loop: Header=BB12_1427 Depth=2
	s_andn2_saveexec_b64 s[76:77], s[76:77]
; %bb.1433:                             ;   in Loop: Header=BB12_1427 Depth=2
	v_or_b32_e32 v13, 0x10000, v22
	v_cmp_eq_u32_sdwa vcc, v22, v1 src0_sel:WORD_0 src1_sel:DWORD
	v_cndmask_b32_e32 v13, v13, v22, vcc
; %bb.1434:                             ;   in Loop: Header=BB12_1427 Depth=2
	s_or_b64 exec, exec, s[76:77]
	v_and_b32_e32 v16, 0xffff0000, v16
	v_and_b32_e32 v17, 0xffff0000, v17
	v_add_f32_e32 v17, v16, v17
	v_and_b32_e32 v16, 0x7f800000, v17
	v_cmp_ne_u32_e32 vcc, s37, v16
                                        ; implicit-def: $vgpr16
	s_and_saveexec_b64 s[76:77], vcc
	s_xor_b64 s[76:77], exec, s[76:77]
; %bb.1435:                             ;   in Loop: Header=BB12_1427 Depth=2
	v_bfe_u32 v16, v17, 16, 1
	v_add3_u32 v16, v17, v16, s38
                                        ; implicit-def: $vgpr17
; %bb.1436:                             ;   in Loop: Header=BB12_1427 Depth=2
	s_andn2_saveexec_b64 s[76:77], s[76:77]
; %bb.1437:                             ;   in Loop: Header=BB12_1427 Depth=2
	v_or_b32_e32 v16, 0x10000, v17
	v_cmp_eq_u32_sdwa vcc, v17, v1 src0_sel:WORD_0 src1_sel:DWORD
	v_cndmask_b32_e32 v16, v16, v17, vcc
; %bb.1438:                             ;   in Loop: Header=BB12_1427 Depth=2
	s_or_b64 exec, exec, s[76:77]
	v_lshlrev_b32_e32 v17, 16, v20
	s_waitcnt vmcnt(3)
	v_lshlrev_b32_e32 v22, 16, v21
	v_add_f32_e32 v22, v17, v22
	v_and_b32_e32 v17, 0x7f800000, v22
	v_cmp_ne_u32_e32 vcc, s37, v17
                                        ; implicit-def: $vgpr17
	s_and_saveexec_b64 s[76:77], vcc
	s_xor_b64 s[76:77], exec, s[76:77]
; %bb.1439:                             ;   in Loop: Header=BB12_1427 Depth=2
	v_bfe_u32 v17, v22, 16, 1
	v_add3_u32 v17, v22, v17, s38
                                        ; implicit-def: $vgpr22
; %bb.1440:                             ;   in Loop: Header=BB12_1427 Depth=2
	s_andn2_saveexec_b64 s[76:77], s[76:77]
; %bb.1441:                             ;   in Loop: Header=BB12_1427 Depth=2
	v_or_b32_e32 v17, 0x10000, v22
	v_cmp_eq_u32_sdwa vcc, v22, v1 src0_sel:WORD_0 src1_sel:DWORD
	v_cndmask_b32_e32 v17, v17, v22, vcc
; %bb.1442:                             ;   in Loop: Header=BB12_1427 Depth=2
	s_or_b64 exec, exec, s[76:77]
	v_and_b32_e32 v20, 0xffff0000, v20
	v_and_b32_e32 v21, 0xffff0000, v21
	v_add_f32_e32 v21, v20, v21
	v_and_b32_e32 v20, 0x7f800000, v21
	v_cmp_ne_u32_e32 vcc, s37, v20
                                        ; implicit-def: $vgpr20
	s_and_saveexec_b64 s[76:77], vcc
	s_xor_b64 s[76:77], exec, s[76:77]
; %bb.1443:                             ;   in Loop: Header=BB12_1427 Depth=2
	v_bfe_u32 v20, v21, 16, 1
	v_add3_u32 v20, v21, v20, s38
                                        ; implicit-def: $vgpr21
; %bb.1444:                             ;   in Loop: Header=BB12_1427 Depth=2
	s_andn2_saveexec_b64 s[76:77], s[76:77]
; %bb.1445:                             ;   in Loop: Header=BB12_1427 Depth=2
	v_or_b32_e32 v20, 0x10000, v21
	v_cmp_eq_u32_sdwa vcc, v21, v1 src0_sel:WORD_0 src1_sel:DWORD
	v_cndmask_b32_e32 v20, v20, v21, vcc
; %bb.1446:                             ;   in Loop: Header=BB12_1427 Depth=2
	s_or_b64 exec, exec, s[76:77]
	v_lshlrev_b32_e32 v21, 16, v18
	s_waitcnt vmcnt(2)
	v_lshlrev_b32_e32 v22, 16, v19
	v_add_f32_e32 v22, v21, v22
	v_and_b32_e32 v21, 0x7f800000, v22
	v_cmp_ne_u32_e32 vcc, s37, v21
                                        ; implicit-def: $vgpr21
	s_and_saveexec_b64 s[76:77], vcc
	s_xor_b64 s[76:77], exec, s[76:77]
; %bb.1447:                             ;   in Loop: Header=BB12_1427 Depth=2
	v_bfe_u32 v21, v22, 16, 1
	v_add3_u32 v21, v22, v21, s38
                                        ; implicit-def: $vgpr22
; %bb.1448:                             ;   in Loop: Header=BB12_1427 Depth=2
	s_andn2_saveexec_b64 s[76:77], s[76:77]
; %bb.1449:                             ;   in Loop: Header=BB12_1427 Depth=2
	v_or_b32_e32 v21, 0x10000, v22
	v_cmp_eq_u32_sdwa vcc, v22, v1 src0_sel:WORD_0 src1_sel:DWORD
	v_cndmask_b32_e32 v21, v21, v22, vcc
; %bb.1450:                             ;   in Loop: Header=BB12_1427 Depth=2
	s_or_b64 exec, exec, s[76:77]
	v_and_b32_e32 v18, 0xffff0000, v18
	v_and_b32_e32 v19, 0xffff0000, v19
	v_add_f32_e32 v19, v18, v19
	v_and_b32_e32 v18, 0x7f800000, v19
	v_cmp_ne_u32_e32 vcc, s37, v18
                                        ; implicit-def: $vgpr18
	s_and_saveexec_b64 s[76:77], vcc
	s_xor_b64 s[76:77], exec, s[76:77]
; %bb.1451:                             ;   in Loop: Header=BB12_1427 Depth=2
	v_bfe_u32 v18, v19, 16, 1
	v_add3_u32 v18, v19, v18, s38
                                        ; implicit-def: $vgpr19
; %bb.1452:                             ;   in Loop: Header=BB12_1427 Depth=2
	s_andn2_saveexec_b64 s[76:77], s[76:77]
; %bb.1453:                             ;   in Loop: Header=BB12_1427 Depth=2
	v_or_b32_e32 v18, 0x10000, v19
	v_cmp_eq_u32_sdwa vcc, v19, v1 src0_sel:WORD_0 src1_sel:DWORD
	v_cndmask_b32_e32 v18, v18, v19, vcc
; %bb.1454:                             ;   in Loop: Header=BB12_1427 Depth=2
	s_or_b64 exec, exec, s[76:77]
	s_waitcnt vmcnt(0)
	v_lshlrev_b32_e32 v19, 16, v15
	v_lshlrev_b32_e32 v22, 16, v14
	v_add_f32_e32 v22, v19, v22
	v_and_b32_e32 v19, 0x7f800000, v22
	v_cmp_ne_u32_e32 vcc, s37, v19
                                        ; implicit-def: $vgpr19
	s_and_saveexec_b64 s[76:77], vcc
	s_xor_b64 s[76:77], exec, s[76:77]
; %bb.1455:                             ;   in Loop: Header=BB12_1427 Depth=2
	v_bfe_u32 v19, v22, 16, 1
	v_add3_u32 v19, v22, v19, s38
                                        ; implicit-def: $vgpr22
; %bb.1456:                             ;   in Loop: Header=BB12_1427 Depth=2
	s_andn2_saveexec_b64 s[76:77], s[76:77]
; %bb.1457:                             ;   in Loop: Header=BB12_1427 Depth=2
	v_or_b32_e32 v19, 0x10000, v22
	v_cmp_eq_u32_sdwa vcc, v22, v1 src0_sel:WORD_0 src1_sel:DWORD
	v_cndmask_b32_e32 v19, v19, v22, vcc
; %bb.1458:                             ;   in Loop: Header=BB12_1427 Depth=2
	s_or_b64 exec, exec, s[76:77]
	v_and_b32_e32 v15, 0xffff0000, v15
	v_and_b32_e32 v14, 0xffff0000, v14
	v_add_f32_e32 v15, v15, v14
	v_and_b32_e32 v14, 0x7f800000, v15
	v_cmp_ne_u32_e32 vcc, s37, v14
                                        ; implicit-def: $vgpr14
	s_and_saveexec_b64 s[76:77], vcc
	s_xor_b64 s[76:77], exec, s[76:77]
; %bb.1459:                             ;   in Loop: Header=BB12_1427 Depth=2
	v_bfe_u32 v14, v15, 16, 1
	v_add3_u32 v14, v15, v14, s38
                                        ; implicit-def: $vgpr15
; %bb.1460:                             ;   in Loop: Header=BB12_1427 Depth=2
	s_andn2_saveexec_b64 s[76:77], s[76:77]
; %bb.1461:                             ;   in Loop: Header=BB12_1427 Depth=2
	v_or_b32_e32 v14, 0x10000, v15
	v_cmp_eq_u32_sdwa vcc, v15, v1 src0_sel:WORD_0 src1_sel:DWORD
	v_cndmask_b32_e32 v14, v14, v15, vcc
; %bb.1462:                             ;   in Loop: Header=BB12_1427 Depth=2
	s_or_b64 exec, exec, s[76:77]
	v_lshrrev_b32_e32 v13, 16, v13
	v_and_or_b32 v16, v16, s39, v13
	v_lshrrev_b32_e32 v13, 16, v21
	v_lshrrev_b32_e32 v15, 16, v17
	v_and_or_b32 v18, v18, s39, v13
	v_lshrrev_b32_e32 v13, 16, v19
	v_and_or_b32 v17, v20, s39, v15
	v_and_or_b32 v19, v14, s39, v13
	buffer_store_dword v17, off, s[0:3], s33 offset:100
	buffer_store_dword v16, off, s[0:3], s33 offset:96
	;; [unrolled: 1-line block ×4, first 2 shown]
	global_store_dwordx4 v[2:3], v[16:19], off glc slc
	v_add_co_u32_e32 v2, vcc, v47, v2
	v_addc_co_u32_e32 v3, vcc, v60, v3, vcc
.LBB12_1463:                            ;   in Loop: Header=BB12_1427 Depth=2
	s_or_b64 exec, exec, s[20:21]
	v_add_co_u32_e32 v9, vcc, v9, v43
	v_addc_co_u32_e32 v10, vcc, v10, v46, vcc
	v_add_co_u32_e32 v11, vcc, v11, v43
	v_sub_u32_e32 v8, v8, v40
	v_addc_co_u32_e32 v12, vcc, v12, v46, vcc
	v_cmp_lt_i32_e64 s[76:77], 15, v8
	s_and_saveexec_b64 s[78:79], s[76:77]
	s_cbranch_execz .LBB12_1466
; %bb.1464:                             ;   in Loop: Header=BB12_1427 Depth=2
	s_lshr_b32 s92, s33, 6
	s_addk_i32 s92, 0x60
	s_mov_b64 s[90:91], 0
	s_mov_b64 s[88:89], -1
.LBB12_1465:                            ;   Parent Loop BB12_952 Depth=1
                                        ;     Parent Loop BB12_1427 Depth=2
                                        ; =>    This Inner Loop Header: Depth=3
	s_cmp_eq_u32 s90, 1
	s_cselect_b64 s[20:21], -1, 0
	v_cndmask_b32_e64 v18, v10, v12, s[20:21]
	v_cndmask_b32_e64 v17, v9, v11, s[20:21]
	global_load_dwordx4 v[13:16], v[17:18], off glc slc
	v_mov_b32_e32 v19, s92
	s_cmp_eq_u32 s90, 0
	s_mov_b64 s[90:91], 1
	s_mov_b32 s92, s31
	s_waitcnt vmcnt(0)
	buffer_store_dword v14, v19, s[0:3], 0 offen offset:4
	buffer_store_dword v13, v19, s[0:3], 0 offen
	buffer_store_dword v16, v19, s[0:3], 0 offen offset:12
	buffer_store_dword v15, v19, s[0:3], 0 offen offset:8
	v_add_co_u32_e32 v13, vcc, s35, v17
	v_addc_co_u32_e32 v14, vcc, 0, v18, vcc
	s_cselect_b64 vcc, -1, 0
	v_cndmask_b32_e32 v10, v10, v14, vcc
	v_cndmask_b32_e32 v9, v9, v13, vcc
	v_cndmask_b32_e64 v12, v12, v14, s[20:21]
	v_cndmask_b32_e64 v11, v11, v13, s[20:21]
	s_and_b64 vcc, exec, s[88:89]
	s_mov_b64 s[88:89], 0
	s_cbranch_vccnz .LBB12_1465
.LBB12_1466:                            ;   in Loop: Header=BB12_1427 Depth=2
	s_or_b64 exec, exec, s[78:79]
	buffer_load_dword v16, off, s[0:3], s33 offset:64
	buffer_load_dword v20, off, s[0:3], s33 offset:68
	;; [unrolled: 1-line block ×8, first 2 shown]
	s_waitcnt vmcnt(7)
	v_lshlrev_b32_e32 v13, 16, v16
	s_waitcnt vmcnt(4)
	v_lshlrev_b32_e32 v22, 16, v17
	v_add_f32_e32 v22, v13, v22
	v_and_b32_e32 v13, 0x7f800000, v22
	v_cmp_ne_u32_e32 vcc, s37, v13
                                        ; implicit-def: $vgpr13
	s_and_saveexec_b64 s[20:21], vcc
	s_xor_b64 s[20:21], exec, s[20:21]
; %bb.1467:                             ;   in Loop: Header=BB12_1427 Depth=2
	v_bfe_u32 v13, v22, 16, 1
	v_add3_u32 v13, v22, v13, s38
                                        ; implicit-def: $vgpr22
; %bb.1468:                             ;   in Loop: Header=BB12_1427 Depth=2
	s_andn2_saveexec_b64 s[20:21], s[20:21]
; %bb.1469:                             ;   in Loop: Header=BB12_1427 Depth=2
	v_or_b32_e32 v13, 0x10000, v22
	v_cmp_eq_u32_sdwa vcc, v22, v1 src0_sel:WORD_0 src1_sel:DWORD
	v_cndmask_b32_e32 v13, v13, v22, vcc
; %bb.1470:                             ;   in Loop: Header=BB12_1427 Depth=2
	s_or_b64 exec, exec, s[20:21]
	v_and_b32_e32 v16, 0xffff0000, v16
	v_and_b32_e32 v17, 0xffff0000, v17
	v_add_f32_e32 v17, v16, v17
	v_and_b32_e32 v16, 0x7f800000, v17
	v_cmp_ne_u32_e32 vcc, s37, v16
                                        ; implicit-def: $vgpr16
	s_and_saveexec_b64 s[20:21], vcc
	s_xor_b64 s[20:21], exec, s[20:21]
; %bb.1471:                             ;   in Loop: Header=BB12_1427 Depth=2
	v_bfe_u32 v16, v17, 16, 1
	v_add3_u32 v16, v17, v16, s38
                                        ; implicit-def: $vgpr17
; %bb.1472:                             ;   in Loop: Header=BB12_1427 Depth=2
	s_andn2_saveexec_b64 s[20:21], s[20:21]
; %bb.1473:                             ;   in Loop: Header=BB12_1427 Depth=2
	v_or_b32_e32 v16, 0x10000, v17
	v_cmp_eq_u32_sdwa vcc, v17, v1 src0_sel:WORD_0 src1_sel:DWORD
	v_cndmask_b32_e32 v16, v16, v17, vcc
; %bb.1474:                             ;   in Loop: Header=BB12_1427 Depth=2
	s_or_b64 exec, exec, s[20:21]
	v_lshlrev_b32_e32 v17, 16, v20
	s_waitcnt vmcnt(3)
	v_lshlrev_b32_e32 v22, 16, v21
	v_add_f32_e32 v22, v17, v22
	v_and_b32_e32 v17, 0x7f800000, v22
	v_cmp_ne_u32_e32 vcc, s37, v17
                                        ; implicit-def: $vgpr17
	s_and_saveexec_b64 s[20:21], vcc
	s_xor_b64 s[20:21], exec, s[20:21]
; %bb.1475:                             ;   in Loop: Header=BB12_1427 Depth=2
	v_bfe_u32 v17, v22, 16, 1
	v_add3_u32 v17, v22, v17, s38
                                        ; implicit-def: $vgpr22
; %bb.1476:                             ;   in Loop: Header=BB12_1427 Depth=2
	s_andn2_saveexec_b64 s[20:21], s[20:21]
; %bb.1477:                             ;   in Loop: Header=BB12_1427 Depth=2
	v_or_b32_e32 v17, 0x10000, v22
	v_cmp_eq_u32_sdwa vcc, v22, v1 src0_sel:WORD_0 src1_sel:DWORD
	v_cndmask_b32_e32 v17, v17, v22, vcc
; %bb.1478:                             ;   in Loop: Header=BB12_1427 Depth=2
	s_or_b64 exec, exec, s[20:21]
	v_and_b32_e32 v20, 0xffff0000, v20
	v_and_b32_e32 v21, 0xffff0000, v21
	v_add_f32_e32 v21, v20, v21
	v_and_b32_e32 v20, 0x7f800000, v21
	v_cmp_ne_u32_e32 vcc, s37, v20
                                        ; implicit-def: $vgpr20
	s_and_saveexec_b64 s[20:21], vcc
	s_xor_b64 s[20:21], exec, s[20:21]
; %bb.1479:                             ;   in Loop: Header=BB12_1427 Depth=2
	v_bfe_u32 v20, v21, 16, 1
	v_add3_u32 v20, v21, v20, s38
                                        ; implicit-def: $vgpr21
; %bb.1480:                             ;   in Loop: Header=BB12_1427 Depth=2
	s_andn2_saveexec_b64 s[20:21], s[20:21]
; %bb.1481:                             ;   in Loop: Header=BB12_1427 Depth=2
	v_or_b32_e32 v20, 0x10000, v21
	v_cmp_eq_u32_sdwa vcc, v21, v1 src0_sel:WORD_0 src1_sel:DWORD
	v_cndmask_b32_e32 v20, v20, v21, vcc
; %bb.1482:                             ;   in Loop: Header=BB12_1427 Depth=2
	s_or_b64 exec, exec, s[20:21]
	v_lshlrev_b32_e32 v21, 16, v18
	s_waitcnt vmcnt(2)
	v_lshlrev_b32_e32 v22, 16, v19
	v_add_f32_e32 v22, v21, v22
	v_and_b32_e32 v21, 0x7f800000, v22
	v_cmp_ne_u32_e32 vcc, s37, v21
                                        ; implicit-def: $vgpr21
	s_and_saveexec_b64 s[20:21], vcc
	s_xor_b64 s[20:21], exec, s[20:21]
; %bb.1483:                             ;   in Loop: Header=BB12_1427 Depth=2
	v_bfe_u32 v21, v22, 16, 1
	v_add3_u32 v21, v22, v21, s38
                                        ; implicit-def: $vgpr22
; %bb.1484:                             ;   in Loop: Header=BB12_1427 Depth=2
	s_andn2_saveexec_b64 s[20:21], s[20:21]
; %bb.1485:                             ;   in Loop: Header=BB12_1427 Depth=2
	v_or_b32_e32 v21, 0x10000, v22
	v_cmp_eq_u32_sdwa vcc, v22, v1 src0_sel:WORD_0 src1_sel:DWORD
	v_cndmask_b32_e32 v21, v21, v22, vcc
; %bb.1486:                             ;   in Loop: Header=BB12_1427 Depth=2
	s_or_b64 exec, exec, s[20:21]
	v_and_b32_e32 v18, 0xffff0000, v18
	v_and_b32_e32 v19, 0xffff0000, v19
	v_add_f32_e32 v19, v18, v19
	v_and_b32_e32 v18, 0x7f800000, v19
	v_cmp_ne_u32_e32 vcc, s37, v18
                                        ; implicit-def: $vgpr18
	s_and_saveexec_b64 s[20:21], vcc
	s_xor_b64 s[20:21], exec, s[20:21]
; %bb.1487:                             ;   in Loop: Header=BB12_1427 Depth=2
	v_bfe_u32 v18, v19, 16, 1
	v_add3_u32 v18, v19, v18, s38
                                        ; implicit-def: $vgpr19
; %bb.1488:                             ;   in Loop: Header=BB12_1427 Depth=2
	s_andn2_saveexec_b64 s[20:21], s[20:21]
; %bb.1489:                             ;   in Loop: Header=BB12_1427 Depth=2
	v_or_b32_e32 v18, 0x10000, v19
	v_cmp_eq_u32_sdwa vcc, v19, v1 src0_sel:WORD_0 src1_sel:DWORD
	v_cndmask_b32_e32 v18, v18, v19, vcc
; %bb.1490:                             ;   in Loop: Header=BB12_1427 Depth=2
	s_or_b64 exec, exec, s[20:21]
	s_waitcnt vmcnt(0)
	v_lshlrev_b32_e32 v19, 16, v15
	v_lshlrev_b32_e32 v22, 16, v14
	v_add_f32_e32 v22, v19, v22
	v_and_b32_e32 v19, 0x7f800000, v22
	v_cmp_ne_u32_e32 vcc, s37, v19
                                        ; implicit-def: $vgpr19
	s_and_saveexec_b64 s[20:21], vcc
	s_xor_b64 s[20:21], exec, s[20:21]
; %bb.1491:                             ;   in Loop: Header=BB12_1427 Depth=2
	v_bfe_u32 v19, v22, 16, 1
	v_add3_u32 v19, v22, v19, s38
                                        ; implicit-def: $vgpr22
; %bb.1492:                             ;   in Loop: Header=BB12_1427 Depth=2
	s_andn2_saveexec_b64 s[20:21], s[20:21]
; %bb.1493:                             ;   in Loop: Header=BB12_1427 Depth=2
	v_or_b32_e32 v19, 0x10000, v22
	v_cmp_eq_u32_sdwa vcc, v22, v1 src0_sel:WORD_0 src1_sel:DWORD
	v_cndmask_b32_e32 v19, v19, v22, vcc
; %bb.1494:                             ;   in Loop: Header=BB12_1427 Depth=2
	s_or_b64 exec, exec, s[20:21]
	v_and_b32_e32 v15, 0xffff0000, v15
	v_and_b32_e32 v14, 0xffff0000, v14
	v_add_f32_e32 v15, v15, v14
	v_and_b32_e32 v14, 0x7f800000, v15
	v_cmp_ne_u32_e32 vcc, s37, v14
                                        ; implicit-def: $vgpr14
	s_and_saveexec_b64 s[20:21], vcc
	s_xor_b64 s[20:21], exec, s[20:21]
; %bb.1495:                             ;   in Loop: Header=BB12_1427 Depth=2
	v_bfe_u32 v14, v15, 16, 1
	v_add3_u32 v14, v15, v14, s38
                                        ; implicit-def: $vgpr15
; %bb.1496:                             ;   in Loop: Header=BB12_1427 Depth=2
	s_andn2_saveexec_b64 s[20:21], s[20:21]
; %bb.1497:                             ;   in Loop: Header=BB12_1427 Depth=2
	v_or_b32_e32 v14, 0x10000, v15
	v_cmp_eq_u32_sdwa vcc, v15, v1 src0_sel:WORD_0 src1_sel:DWORD
	v_cndmask_b32_e32 v14, v14, v15, vcc
; %bb.1498:                             ;   in Loop: Header=BB12_1427 Depth=2
	s_or_b64 exec, exec, s[20:21]
	buffer_load_dword v15, off, s[0:3], s33 offset:232 ; 4-byte Folded Reload
	v_lshrrev_b32_e32 v13, 16, v13
	v_and_or_b32 v16, v16, s39, v13
	v_lshrrev_b32_e32 v13, 16, v21
	v_and_or_b32 v18, v18, s39, v13
	;; [unrolled: 2-line block ×3, first 2 shown]
	s_waitcnt vmcnt(0)
	v_sub_u32_e32 v7, v7, v15
	v_lshrrev_b32_e32 v15, 16, v17
	v_and_or_b32 v17, v20, s39, v15
	buffer_store_dword v17, off, s[0:3], s33 offset:68
	buffer_store_dword v16, off, s[0:3], s33 offset:64
	;; [unrolled: 1-line block ×4, first 2 shown]
	global_store_dwordx4 v[2:3], v[16:19], off glc slc
	v_add_co_u32_e32 v2, vcc, 0x400, v2
	v_addc_co_u32_e32 v3, vcc, 0, v3, vcc
	s_and_saveexec_b64 s[20:21], s[76:77]
	s_cbranch_execz .LBB12_1426
; %bb.1499:                             ;   in Loop: Header=BB12_1427 Depth=2
	buffer_load_dword v13, off, s[0:3], s33 offset:232 ; 4-byte Folded Reload
	v_add_co_u32_e32 v9, vcc, v9, v43
	v_addc_co_u32_e32 v10, vcc, v10, v46, vcc
	v_add_co_u32_e32 v11, vcc, v11, v43
	v_addc_co_u32_e32 v12, vcc, v12, v46, vcc
	;; [unrolled: 2-line block ×3, first 2 shown]
	v_sub_u32_e32 v8, v8, v40
	s_waitcnt vmcnt(0)
	v_sub_u32_e32 v7, v7, v13
	s_branch .LBB12_1426
.LBB12_1500:                            ;   in Loop: Header=BB12_952 Depth=1
	s_or_b64 exec, exec, s[72:73]
	s_and_b64 s[72:73], s[74:75], exec
.LBB12_1501:                            ;   in Loop: Header=BB12_952 Depth=1
	s_or_b64 exec, exec, s[62:63]
	s_and_saveexec_b64 s[20:21], s[72:73]
	s_cbranch_execz .LBB12_1535
; %bb.1502:                             ;   in Loop: Header=BB12_952 Depth=1
	buffer_load_dword v11, off, s[0:3], s33 offset:96
	buffer_load_dword v15, off, s[0:3], s33 offset:100
	;; [unrolled: 1-line block ×8, first 2 shown]
	s_waitcnt vmcnt(7)
	v_lshlrev_b32_e32 v8, 16, v11
	s_waitcnt vmcnt(4)
	v_lshlrev_b32_e32 v17, 16, v12
	v_add_f32_e32 v17, v8, v17
	v_and_b32_e32 v8, 0x7f800000, v17
	v_cmp_ne_u32_e32 vcc, s37, v8
                                        ; implicit-def: $vgpr8
	s_and_saveexec_b64 s[62:63], vcc
	s_xor_b64 s[62:63], exec, s[62:63]
; %bb.1503:                             ;   in Loop: Header=BB12_952 Depth=1
	v_bfe_u32 v8, v17, 16, 1
	v_add3_u32 v8, v17, v8, s38
                                        ; implicit-def: $vgpr17
; %bb.1504:                             ;   in Loop: Header=BB12_952 Depth=1
	s_andn2_saveexec_b64 s[62:63], s[62:63]
; %bb.1505:                             ;   in Loop: Header=BB12_952 Depth=1
	v_or_b32_e32 v8, 0x10000, v17
	v_cmp_eq_u32_sdwa vcc, v17, v1 src0_sel:WORD_0 src1_sel:DWORD
	v_cndmask_b32_e32 v8, v8, v17, vcc
; %bb.1506:                             ;   in Loop: Header=BB12_952 Depth=1
	s_or_b64 exec, exec, s[62:63]
	v_and_b32_e32 v11, 0xffff0000, v11
	v_and_b32_e32 v12, 0xffff0000, v12
	v_add_f32_e32 v12, v11, v12
	v_and_b32_e32 v11, 0x7f800000, v12
	v_cmp_ne_u32_e32 vcc, s37, v11
                                        ; implicit-def: $vgpr11
	s_and_saveexec_b64 s[62:63], vcc
	s_xor_b64 s[62:63], exec, s[62:63]
; %bb.1507:                             ;   in Loop: Header=BB12_952 Depth=1
	v_bfe_u32 v11, v12, 16, 1
	v_add3_u32 v11, v12, v11, s38
                                        ; implicit-def: $vgpr12
; %bb.1508:                             ;   in Loop: Header=BB12_952 Depth=1
	s_andn2_saveexec_b64 s[62:63], s[62:63]
; %bb.1509:                             ;   in Loop: Header=BB12_952 Depth=1
	v_or_b32_e32 v11, 0x10000, v12
	v_cmp_eq_u32_sdwa vcc, v12, v1 src0_sel:WORD_0 src1_sel:DWORD
	v_cndmask_b32_e32 v11, v11, v12, vcc
; %bb.1510:                             ;   in Loop: Header=BB12_952 Depth=1
	s_or_b64 exec, exec, s[62:63]
	v_lshlrev_b32_e32 v12, 16, v15
	s_waitcnt vmcnt(3)
	v_lshlrev_b32_e32 v17, 16, v16
	v_add_f32_e32 v17, v12, v17
	v_and_b32_e32 v12, 0x7f800000, v17
	v_cmp_ne_u32_e32 vcc, s37, v12
                                        ; implicit-def: $vgpr12
	s_and_saveexec_b64 s[62:63], vcc
	s_xor_b64 s[62:63], exec, s[62:63]
; %bb.1511:                             ;   in Loop: Header=BB12_952 Depth=1
	v_bfe_u32 v12, v17, 16, 1
	v_add3_u32 v12, v17, v12, s38
                                        ; implicit-def: $vgpr17
; %bb.1512:                             ;   in Loop: Header=BB12_952 Depth=1
	s_andn2_saveexec_b64 s[62:63], s[62:63]
; %bb.1513:                             ;   in Loop: Header=BB12_952 Depth=1
	v_or_b32_e32 v12, 0x10000, v17
	v_cmp_eq_u32_sdwa vcc, v17, v1 src0_sel:WORD_0 src1_sel:DWORD
	v_cndmask_b32_e32 v12, v12, v17, vcc
; %bb.1514:                             ;   in Loop: Header=BB12_952 Depth=1
	s_or_b64 exec, exec, s[62:63]
	v_and_b32_e32 v15, 0xffff0000, v15
	v_and_b32_e32 v16, 0xffff0000, v16
	v_add_f32_e32 v16, v15, v16
	v_and_b32_e32 v15, 0x7f800000, v16
	v_cmp_ne_u32_e32 vcc, s37, v15
                                        ; implicit-def: $vgpr15
	s_and_saveexec_b64 s[62:63], vcc
	s_xor_b64 s[62:63], exec, s[62:63]
; %bb.1515:                             ;   in Loop: Header=BB12_952 Depth=1
	v_bfe_u32 v15, v16, 16, 1
	v_add3_u32 v15, v16, v15, s38
                                        ; implicit-def: $vgpr16
; %bb.1516:                             ;   in Loop: Header=BB12_952 Depth=1
	s_andn2_saveexec_b64 s[62:63], s[62:63]
; %bb.1517:                             ;   in Loop: Header=BB12_952 Depth=1
	v_or_b32_e32 v15, 0x10000, v16
	v_cmp_eq_u32_sdwa vcc, v16, v1 src0_sel:WORD_0 src1_sel:DWORD
	v_cndmask_b32_e32 v15, v15, v16, vcc
; %bb.1518:                             ;   in Loop: Header=BB12_952 Depth=1
	s_or_b64 exec, exec, s[62:63]
	v_lshlrev_b32_e32 v16, 16, v13
	s_waitcnt vmcnt(2)
	v_lshlrev_b32_e32 v17, 16, v14
	v_add_f32_e32 v17, v16, v17
	v_and_b32_e32 v16, 0x7f800000, v17
	v_cmp_ne_u32_e32 vcc, s37, v16
                                        ; implicit-def: $vgpr16
	s_and_saveexec_b64 s[62:63], vcc
	s_xor_b64 s[62:63], exec, s[62:63]
; %bb.1519:                             ;   in Loop: Header=BB12_952 Depth=1
	v_bfe_u32 v16, v17, 16, 1
	v_add3_u32 v16, v17, v16, s38
                                        ; implicit-def: $vgpr17
; %bb.1520:                             ;   in Loop: Header=BB12_952 Depth=1
	s_andn2_saveexec_b64 s[62:63], s[62:63]
; %bb.1521:                             ;   in Loop: Header=BB12_952 Depth=1
	v_or_b32_e32 v16, 0x10000, v17
	v_cmp_eq_u32_sdwa vcc, v17, v1 src0_sel:WORD_0 src1_sel:DWORD
	v_cndmask_b32_e32 v16, v16, v17, vcc
; %bb.1522:                             ;   in Loop: Header=BB12_952 Depth=1
	s_or_b64 exec, exec, s[62:63]
	v_and_b32_e32 v13, 0xffff0000, v13
	v_and_b32_e32 v14, 0xffff0000, v14
	v_add_f32_e32 v14, v13, v14
	v_and_b32_e32 v13, 0x7f800000, v14
	v_cmp_ne_u32_e32 vcc, s37, v13
                                        ; implicit-def: $vgpr13
	s_and_saveexec_b64 s[62:63], vcc
	s_xor_b64 s[62:63], exec, s[62:63]
; %bb.1523:                             ;   in Loop: Header=BB12_952 Depth=1
	v_bfe_u32 v13, v14, 16, 1
	v_add3_u32 v13, v14, v13, s38
                                        ; implicit-def: $vgpr14
; %bb.1524:                             ;   in Loop: Header=BB12_952 Depth=1
	s_andn2_saveexec_b64 s[62:63], s[62:63]
; %bb.1525:                             ;   in Loop: Header=BB12_952 Depth=1
	v_or_b32_e32 v13, 0x10000, v14
	v_cmp_eq_u32_sdwa vcc, v14, v1 src0_sel:WORD_0 src1_sel:DWORD
	v_cndmask_b32_e32 v13, v13, v14, vcc
; %bb.1526:                             ;   in Loop: Header=BB12_952 Depth=1
	s_or_b64 exec, exec, s[62:63]
	s_waitcnt vmcnt(0)
	v_lshlrev_b32_e32 v14, 16, v10
	v_lshlrev_b32_e32 v17, 16, v9
	v_add_f32_e32 v17, v14, v17
	v_and_b32_e32 v14, 0x7f800000, v17
	v_cmp_ne_u32_e32 vcc, s37, v14
                                        ; implicit-def: $vgpr14
	s_and_saveexec_b64 s[62:63], vcc
	s_xor_b64 s[62:63], exec, s[62:63]
; %bb.1527:                             ;   in Loop: Header=BB12_952 Depth=1
	v_bfe_u32 v14, v17, 16, 1
	v_add3_u32 v14, v17, v14, s38
                                        ; implicit-def: $vgpr17
; %bb.1528:                             ;   in Loop: Header=BB12_952 Depth=1
	s_andn2_saveexec_b64 s[62:63], s[62:63]
; %bb.1529:                             ;   in Loop: Header=BB12_952 Depth=1
	v_or_b32_e32 v14, 0x10000, v17
	v_cmp_eq_u32_sdwa vcc, v17, v1 src0_sel:WORD_0 src1_sel:DWORD
	v_cndmask_b32_e32 v14, v14, v17, vcc
; %bb.1530:                             ;   in Loop: Header=BB12_952 Depth=1
	s_or_b64 exec, exec, s[62:63]
	v_and_b32_e32 v10, 0xffff0000, v10
	v_and_b32_e32 v9, 0xffff0000, v9
	v_add_f32_e32 v10, v10, v9
	v_and_b32_e32 v9, 0x7f800000, v10
	v_cmp_ne_u32_e32 vcc, s37, v9
                                        ; implicit-def: $vgpr9
	s_and_saveexec_b64 s[62:63], vcc
	s_xor_b64 s[62:63], exec, s[62:63]
; %bb.1531:                             ;   in Loop: Header=BB12_952 Depth=1
	v_bfe_u32 v9, v10, 16, 1
	v_add3_u32 v9, v10, v9, s38
                                        ; implicit-def: $vgpr10
; %bb.1532:                             ;   in Loop: Header=BB12_952 Depth=1
	s_andn2_saveexec_b64 s[62:63], s[62:63]
; %bb.1533:                             ;   in Loop: Header=BB12_952 Depth=1
	v_or_b32_e32 v9, 0x10000, v10
	v_cmp_eq_u32_sdwa vcc, v10, v1 src0_sel:WORD_0 src1_sel:DWORD
	v_cndmask_b32_e32 v9, v9, v10, vcc
; %bb.1534:                             ;   in Loop: Header=BB12_952 Depth=1
	s_or_b64 exec, exec, s[62:63]
	v_lshrrev_b32_e32 v8, 16, v8
	v_and_or_b32 v11, v11, s39, v8
	v_lshrrev_b32_e32 v8, 16, v16
	v_lshrrev_b32_e32 v10, 16, v12
	v_and_or_b32 v13, v13, s39, v8
	v_lshrrev_b32_e32 v8, 16, v14
	v_and_or_b32 v12, v15, s39, v10
	v_and_or_b32 v14, v9, s39, v8
	global_store_dwordx4 v[2:3], v[11:14], off glc slc
.LBB12_1535:                            ;   in Loop: Header=BB12_952 Depth=1
	s_or_b64 exec, exec, s[20:21]
	v_and_b32_e32 v3, 14, v54
	v_cndmask_b32_e64 v54, v6, v3, s[18:19]
	v_cmp_ne_u32_e32 vcc, 0, v54
	s_mov_b64 s[62:63], s[58:59]
                                        ; implicit-def: $vgpr8
                                        ; implicit-def: $vgpr9
                                        ; implicit-def: $vgpr2
	s_and_saveexec_b64 s[20:21], vcc
	s_cbranch_execz .LBB12_1537
; %bb.1536:                             ;   in Loop: Header=BB12_952 Depth=1
	v_sub_u32_e32 v2, v6, v3
	v_cndmask_b32_e64 v2, 0, v2, s[18:19]
	v_add3_u32 v8, v5, v4, v2
	buffer_load_dword v2, off, s[0:3], s33 offset:232 ; 4-byte Folded Reload
	v_cmp_lt_i32_e32 vcc, 0, v7
	s_or_b64 s[62:63], s[58:59], exec
	s_waitcnt vmcnt(0)
	v_cndmask_b32_e32 v2, 0, v2, vcc
	v_sub_u32_e32 v2, v2, v7
	v_lshl_add_u32 v0, v2, 6, v0
	v_ashrrev_i32_e32 v2, 31, v0
	v_lshrrev_b32_e32 v2, 26, v2
	v_add_u32_e32 v3, v0, v2
	v_ashrrev_i32_e32 v2, 6, v3
	v_and_b32_e32 v3, 0xffffffc0, v3
	v_sub_u32_e32 v9, v0, v3
.LBB12_1537:                            ;   in Loop: Header=BB12_952 Depth=1
	s_or_b64 exec, exec, s[20:21]
	s_andn2_b64 s[18:19], s[58:59], exec
	s_and_b64 s[20:21], s[62:63], exec
	s_or_b64 s[58:59], s[18:19], s[20:21]
.LBB12_1538:                            ;   in Loop: Header=BB12_952 Depth=1
	s_or_b64 exec, exec, s[60:61]
	s_and_saveexec_b64 s[20:21], s[58:59]
	s_cbranch_execz .LBB12_1766
.LBB12_1539:                            ;   in Loop: Header=BB12_952 Depth=1
	v_lshlrev_b32_e32 v0, 11, v2
	s_waitcnt vmcnt(0)
	v_lshlrev_b32_e32 v3, 1, v9
	buffer_store_dword v52, off, s[0:3], s33 offset:472 ; 4-byte Folded Spill
	buffer_store_dword v51, off, s[0:3], s33 offset:464 ; 4-byte Folded Spill
	s_nop 0
	buffer_store_dword v52, off, s[0:3], s33 offset:468 ; 4-byte Folded Spill
	buffer_store_dword v48, off, s[0:3], s33 offset:448 ; 4-byte Folded Spill
	s_nop 0
	buffer_store_dword v49, off, s[0:3], s33 offset:452 ; 4-byte Folded Spill
	buffer_store_dword v9, off, s[0:3], s33 offset:372 ; 4-byte Folded Spill
	v_add3_u32 v9, v8, v3, v0
	v_ashrrev_i32_e32 v0, 31, v54
	v_lshrrev_b32_e32 v0, 21, v0
	v_add_u32_e32 v0, v54, v0
	v_ashrrev_i32_e32 v0, 11, v0
	v_ashrrev_i32_e32 v21, 31, v9
	v_sub_u32_e32 v10, v0, v2
	v_add_co_u32_e32 v2, vcc, v31, v9
	v_addc_co_u32_e32 v3, vcc, v32, v21, vcc
	buffer_store_dword v8, off, s[0:3], s33 offset:368 ; 4-byte Folded Spill
	buffer_store_dword v54, off, s[0:3], s33 offset:492 ; 4-byte Folded Spill
	;; [unrolled: 1-line block ×3, first 2 shown]
	v_cmp_lt_i32_e32 vcc, 0, v10
	v_mov_b32_e32 v44, 0
	s_mov_b64 s[58:59], 0
	v_mov_b32_e32 v13, 0
	v_mov_b32_e32 v16, 0
	;; [unrolled: 1-line block ×31, first 2 shown]
	s_and_saveexec_b64 s[18:19], vcc
	s_cbranch_execz .LBB12_1675
; %bb.1540:                             ;   in Loop: Header=BB12_952 Depth=1
	buffer_store_dword v31, off, s[0:3], s33 offset:484 ; 4-byte Folded Spill
	s_nop 0
	buffer_store_dword v32, off, s[0:3], s33 offset:488 ; 4-byte Folded Spill
	buffer_store_dword v28, off, s[0:3], s33 offset:480 ; 4-byte Folded Spill
	;; [unrolled: 1-line block ×3, first 2 shown]
	s_trap 2
	ds_read_b64 v[6:7], v0
	buffer_load_dword v4, off, s[0:3], s33 offset:428 ; 4-byte Folded Reload
	buffer_load_dword v5, off, s[0:3], s33 offset:432 ; 4-byte Folded Reload
                                        ; implicit-def: $vgpr0
                                        ; kill: killed $vgpr0
                                        ; implicit-def: $vgpr0
                                        ; kill: killed $vgpr0
	;; [unrolled: 2-line block ×8, first 2 shown]
                                        ; implicit-def: $vgpr0
	s_mov_b64 s[62:63], 0
	s_mov_b64 s[60:61], 0
                                        ; kill: killed $vgpr0
                                        ; implicit-def: $vgpr0
                                        ; implicit-def: $sgpr58_sgpr59
                                        ; implicit-def: $vgpr62
                                        ; implicit-def: $vgpr60
                                        ; implicit-def: $vgpr25
                                        ; implicit-def: $vgpr46
                                        ; implicit-def: $vgpr43
                                        ; implicit-def: $vgpr40
                                        ; implicit-def: $vgpr53
                                        ; implicit-def: $vgpr50
                                        ; implicit-def: $vgpr39
                                        ; implicit-def: $vgpr35
                                        ; implicit-def: $vgpr33
                                        ; implicit-def: $vgpr32
                                        ; implicit-def: $vgpr31
                                        ; implicit-def: $vgpr30
                                        ; implicit-def: $vgpr29
                                        ; kill: killed $vgpr0
                                        ; implicit-def: $vgpr0
                                        ; kill: killed $vgpr0
                                        ; implicit-def: $vgpr22
                                        ; implicit-def: $vgpr23
                                        ; implicit-def: $vgpr26
                                        ; implicit-def: $vgpr27
                                        ; implicit-def: $vgpr28
	s_waitcnt vmcnt(1)
	v_add_co_u32_e32 v4, vcc, v9, v4
	s_waitcnt vmcnt(0)
	v_addc_co_u32_e32 v5, vcc, v21, v5, vcc
	s_waitcnt lgkmcnt(0)
	v_add_co_u32_e32 v6, vcc, v6, v9
	v_addc_co_u32_e32 v7, vcc, v7, v21, vcc
                                        ; implicit-def: $vgpr9
	s_branch .LBB12_1542
.LBB12_1541:                            ;   in Loop: Header=BB12_1542 Depth=2
	s_or_b64 exec, exec, s[72:73]
	flat_store_short_d16_hi v[2:3], v18 glc slc
	flat_store_short_d16_hi v[2:3], v16 offset:128 glc slc
	flat_store_short_d16_hi v[2:3], v14 offset:256 glc slc
	;; [unrolled: 1-line block ×15, first 2 shown]
	buffer_load_dword v11, off, s[0:3], s33 offset:360 ; 4-byte Folded Reload
	buffer_load_dword v12, off, s[0:3], s33 offset:364 ; 4-byte Folded Reload
	;; [unrolled: 1-line block ×4, first 2 shown]
	v_mov_b32_e32 v14, 0x800
	s_waitcnt vmcnt(0)
	v_add_co_u32_e32 v0, vcc, v4, v11
	v_cndmask_b32_e64 v4, v4, v0, s[62:63]
	buffer_load_dword v0, off, s[0:3], s33 offset:232 ; 4-byte Folded Reload
	v_addc_co_u32_e32 v8, vcc, v5, v12, vcc
	v_add_co_u32_e32 v11, vcc, v6, v11
	v_addc_co_u32_e32 v12, vcc, v7, v12, vcc
	v_cndmask_b32_e64 v14, v14, v15, s[62:63]
	v_cndmask_b32_e64 v13, 0, v13, s[62:63]
	v_add_co_u32_e32 v2, vcc, v2, v14
	v_addc_co_u32_e32 v3, vcc, v3, v13, vcc
	v_cndmask_b32_e64 v5, v5, v8, s[62:63]
	v_cndmask_b32_e64 v7, v7, v12, s[62:63]
	;; [unrolled: 1-line block ×3, first 2 shown]
	s_waitcnt vmcnt(0)
	v_cndmask_b32_e64 v0, 0, v0, s[62:63]
	v_sub_u32_e32 v10, v10, v0
	v_cmp_gt_i32_e32 vcc, 1, v10
	s_or_b64 s[60:61], vcc, s[60:61]
	s_andn2_b64 s[58:59], s[58:59], exec
	s_and_b64 s[72:73], s[62:63], exec
	s_or_b64 s[58:59], s[58:59], s[72:73]
	s_andn2_b64 exec, exec, s[60:61]
	s_cbranch_execz .LBB12_1674
.LBB12_1542:                            ;   Parent Loop BB12_952 Depth=1
                                        ; =>  This Inner Loop Header: Depth=2
	flat_load_ushort v18, v[4:5] glc slc
	flat_load_ushort v16, v[4:5] offset:128 glc slc
	flat_load_ushort v14, v[4:5] offset:256 glc slc
	;; [unrolled: 1-line block ×15, first 2 shown]
	flat_load_ushort v19, v[6:7] glc slc
	flat_load_ushort v17, v[6:7] offset:128 glc slc
	flat_load_ushort v15, v[6:7] offset:256 glc slc
	;; [unrolled: 1-line block ×15, first 2 shown]
	s_and_saveexec_b64 s[72:73], s[62:63]
	s_cbranch_execz .LBB12_1608
; %bb.1543:                             ;   in Loop: Header=BB12_1542 Depth=2
	buffer_load_dword v21, off, s[0:3], s33 offset:168 ; 4-byte Folded Reload
	v_lshlrev_b32_e32 v20, 16, v62
	s_waitcnt vmcnt(0)
	v_lshlrev_b32_e32 v62, 16, v21
	v_add_f32_e32 v20, v20, v62
	v_and_b32_e32 v62, 0x7f800000, v20
	v_cmp_ne_u32_e32 vcc, s37, v62
                                        ; implicit-def: $vgpr62
	s_and_saveexec_b64 s[62:63], vcc
	s_xor_b64 s[62:63], exec, s[62:63]
; %bb.1544:                             ;   in Loop: Header=BB12_1542 Depth=2
	v_bfe_u32 v62, v20, 16, 1
	v_add3_u32 v62, v20, v62, s38
                                        ; implicit-def: $vgpr20
; %bb.1545:                             ;   in Loop: Header=BB12_1542 Depth=2
	s_andn2_saveexec_b64 s[62:63], s[62:63]
; %bb.1546:                             ;   in Loop: Header=BB12_1542 Depth=2
	v_or_b32_e32 v62, 0x10000, v20
	v_cmp_eq_u32_sdwa vcc, v20, v1 src0_sel:WORD_0 src1_sel:DWORD
	v_cndmask_b32_e32 v62, v62, v20, vcc
; %bb.1547:                             ;   in Loop: Header=BB12_1542 Depth=2
	s_or_b64 exec, exec, s[62:63]
	buffer_load_dword v20, off, s[0:3], s33 offset:184 ; 4-byte Folded Reload
	v_lshlrev_b32_e32 v9, 16, v9
	s_waitcnt vmcnt(0)
	v_lshlrev_b32_e32 v20, 16, v20
	v_add_f32_e32 v20, v9, v20
	v_and_b32_e32 v9, 0x7f800000, v20
	v_cmp_ne_u32_e32 vcc, s37, v9
                                        ; implicit-def: $vgpr9
	s_and_saveexec_b64 s[62:63], vcc
	s_xor_b64 s[62:63], exec, s[62:63]
; %bb.1548:                             ;   in Loop: Header=BB12_1542 Depth=2
	v_bfe_u32 v9, v20, 16, 1
	v_add3_u32 v9, v20, v9, s38
                                        ; implicit-def: $vgpr20
; %bb.1549:                             ;   in Loop: Header=BB12_1542 Depth=2
	s_andn2_saveexec_b64 s[62:63], s[62:63]
; %bb.1550:                             ;   in Loop: Header=BB12_1542 Depth=2
	v_or_b32_e32 v9, 0x10000, v20
	v_cmp_eq_u32_sdwa vcc, v20, v1 src0_sel:WORD_0 src1_sel:DWORD
	v_cndmask_b32_e32 v9, v9, v20, vcc
; %bb.1551:                             ;   in Loop: Header=BB12_1542 Depth=2
	s_or_b64 exec, exec, s[62:63]
	buffer_load_dword v21, off, s[0:3], s33 offset:200 ; 4-byte Folded Reload
	v_lshlrev_b32_e32 v20, 16, v60
	s_waitcnt vmcnt(0)
	v_lshlrev_b32_e32 v60, 16, v21
	v_add_f32_e32 v20, v20, v60
	v_and_b32_e32 v60, 0x7f800000, v20
	v_cmp_ne_u32_e32 vcc, s37, v60
                                        ; implicit-def: $vgpr60
	s_and_saveexec_b64 s[62:63], vcc
	s_xor_b64 s[62:63], exec, s[62:63]
; %bb.1552:                             ;   in Loop: Header=BB12_1542 Depth=2
	v_bfe_u32 v60, v20, 16, 1
	v_add3_u32 v60, v20, v60, s38
                                        ; implicit-def: $vgpr20
; %bb.1553:                             ;   in Loop: Header=BB12_1542 Depth=2
	s_andn2_saveexec_b64 s[62:63], s[62:63]
; %bb.1554:                             ;   in Loop: Header=BB12_1542 Depth=2
	v_or_b32_e32 v60, 0x10000, v20
	v_cmp_eq_u32_sdwa vcc, v20, v1 src0_sel:WORD_0 src1_sel:DWORD
	v_cndmask_b32_e32 v60, v60, v20, vcc
; %bb.1555:                             ;   in Loop: Header=BB12_1542 Depth=2
	s_or_b64 exec, exec, s[62:63]
	buffer_load_dword v21, off, s[0:3], s33 offset:216 ; 4-byte Folded Reload
	v_lshlrev_b32_e32 v20, 16, v25
	s_waitcnt vmcnt(0)
	v_lshlrev_b32_e32 v25, 16, v21
	v_add_f32_e32 v20, v20, v25
	v_and_b32_e32 v25, 0x7f800000, v20
	v_cmp_ne_u32_e32 vcc, s37, v25
                                        ; implicit-def: $vgpr25
	s_and_saveexec_b64 s[62:63], vcc
	s_xor_b64 s[62:63], exec, s[62:63]
; %bb.1556:                             ;   in Loop: Header=BB12_1542 Depth=2
	v_bfe_u32 v25, v20, 16, 1
	v_add3_u32 v25, v20, v25, s38
                                        ; implicit-def: $vgpr20
; %bb.1557:                             ;   in Loop: Header=BB12_1542 Depth=2
	s_andn2_saveexec_b64 s[62:63], s[62:63]
; %bb.1558:                             ;   in Loop: Header=BB12_1542 Depth=2
	v_or_b32_e32 v25, 0x10000, v20
	v_cmp_eq_u32_sdwa vcc, v20, v1 src0_sel:WORD_0 src1_sel:DWORD
	v_cndmask_b32_e32 v25, v25, v20, vcc
; %bb.1559:                             ;   in Loop: Header=BB12_1542 Depth=2
	s_or_b64 exec, exec, s[62:63]
	buffer_load_dword v21, off, s[0:3], s33 offset:248 ; 4-byte Folded Reload
	v_lshlrev_b32_e32 v20, 16, v46
	s_waitcnt vmcnt(0)
	v_lshlrev_b32_e32 v46, 16, v21
	v_add_f32_e32 v20, v20, v46
	v_and_b32_e32 v46, 0x7f800000, v20
	v_cmp_ne_u32_e32 vcc, s37, v46
                                        ; implicit-def: $vgpr46
	s_and_saveexec_b64 s[62:63], vcc
	s_xor_b64 s[62:63], exec, s[62:63]
; %bb.1560:                             ;   in Loop: Header=BB12_1542 Depth=2
	v_bfe_u32 v46, v20, 16, 1
	v_add3_u32 v46, v20, v46, s38
                                        ; implicit-def: $vgpr20
; %bb.1561:                             ;   in Loop: Header=BB12_1542 Depth=2
	s_andn2_saveexec_b64 s[62:63], s[62:63]
; %bb.1562:                             ;   in Loop: Header=BB12_1542 Depth=2
	v_or_b32_e32 v46, 0x10000, v20
	v_cmp_eq_u32_sdwa vcc, v20, v1 src0_sel:WORD_0 src1_sel:DWORD
	v_cndmask_b32_e32 v46, v46, v20, vcc
; %bb.1563:                             ;   in Loop: Header=BB12_1542 Depth=2
	s_or_b64 exec, exec, s[62:63]
	buffer_load_dword v21, off, s[0:3], s33 offset:328 ; 4-byte Folded Reload
	v_lshlrev_b32_e32 v20, 16, v43
	s_waitcnt vmcnt(0)
	v_lshlrev_b32_e32 v43, 16, v21
	v_add_f32_e32 v20, v20, v43
	v_and_b32_e32 v43, 0x7f800000, v20
	v_cmp_ne_u32_e32 vcc, s37, v43
                                        ; implicit-def: $vgpr43
	s_and_saveexec_b64 s[62:63], vcc
	s_xor_b64 s[62:63], exec, s[62:63]
; %bb.1564:                             ;   in Loop: Header=BB12_1542 Depth=2
	v_bfe_u32 v43, v20, 16, 1
	v_add3_u32 v43, v20, v43, s38
                                        ; implicit-def: $vgpr20
; %bb.1565:                             ;   in Loop: Header=BB12_1542 Depth=2
	s_andn2_saveexec_b64 s[62:63], s[62:63]
; %bb.1566:                             ;   in Loop: Header=BB12_1542 Depth=2
	v_or_b32_e32 v43, 0x10000, v20
	v_cmp_eq_u32_sdwa vcc, v20, v1 src0_sel:WORD_0 src1_sel:DWORD
	v_cndmask_b32_e32 v43, v43, v20, vcc
; %bb.1567:                             ;   in Loop: Header=BB12_1542 Depth=2
	s_or_b64 exec, exec, s[62:63]
	buffer_load_dword v21, off, s[0:3], s33 offset:332 ; 4-byte Folded Reload
	v_lshlrev_b32_e32 v20, 16, v40
	s_waitcnt vmcnt(0)
	v_lshlrev_b32_e32 v40, 16, v21
	v_add_f32_e32 v20, v20, v40
	v_and_b32_e32 v40, 0x7f800000, v20
	v_cmp_ne_u32_e32 vcc, s37, v40
                                        ; implicit-def: $vgpr40
	s_and_saveexec_b64 s[62:63], vcc
	s_xor_b64 s[62:63], exec, s[62:63]
; %bb.1568:                             ;   in Loop: Header=BB12_1542 Depth=2
	v_bfe_u32 v40, v20, 16, 1
	v_add3_u32 v40, v20, v40, s38
                                        ; implicit-def: $vgpr20
; %bb.1569:                             ;   in Loop: Header=BB12_1542 Depth=2
	s_andn2_saveexec_b64 s[62:63], s[62:63]
; %bb.1570:                             ;   in Loop: Header=BB12_1542 Depth=2
	v_or_b32_e32 v40, 0x10000, v20
	v_cmp_eq_u32_sdwa vcc, v20, v1 src0_sel:WORD_0 src1_sel:DWORD
	v_cndmask_b32_e32 v40, v40, v20, vcc
; %bb.1571:                             ;   in Loop: Header=BB12_1542 Depth=2
	s_or_b64 exec, exec, s[62:63]
	buffer_load_dword v21, off, s[0:3], s33 offset:340 ; 4-byte Folded Reload
	v_lshlrev_b32_e32 v20, 16, v53
	s_waitcnt vmcnt(0)
	v_lshlrev_b32_e32 v53, 16, v21
	v_add_f32_e32 v20, v20, v53
	v_and_b32_e32 v53, 0x7f800000, v20
	v_cmp_ne_u32_e32 vcc, s37, v53
                                        ; implicit-def: $vgpr53
	s_and_saveexec_b64 s[62:63], vcc
	s_xor_b64 s[62:63], exec, s[62:63]
; %bb.1572:                             ;   in Loop: Header=BB12_1542 Depth=2
	v_bfe_u32 v53, v20, 16, 1
	v_add3_u32 v53, v20, v53, s38
                                        ; implicit-def: $vgpr20
; %bb.1573:                             ;   in Loop: Header=BB12_1542 Depth=2
	s_andn2_saveexec_b64 s[62:63], s[62:63]
; %bb.1574:                             ;   in Loop: Header=BB12_1542 Depth=2
	v_or_b32_e32 v53, 0x10000, v20
	v_cmp_eq_u32_sdwa vcc, v20, v1 src0_sel:WORD_0 src1_sel:DWORD
	v_cndmask_b32_e32 v53, v53, v20, vcc
; %bb.1575:                             ;   in Loop: Header=BB12_1542 Depth=2
	s_or_b64 exec, exec, s[62:63]
	buffer_load_dword v21, off, s[0:3], s33 offset:344 ; 4-byte Folded Reload
	v_lshlrev_b32_e32 v20, 16, v50
	s_waitcnt vmcnt(0)
	v_lshlrev_b32_e32 v50, 16, v21
	v_add_f32_e32 v20, v20, v50
	v_and_b32_e32 v50, 0x7f800000, v20
	v_cmp_ne_u32_e32 vcc, s37, v50
                                        ; implicit-def: $vgpr50
	s_and_saveexec_b64 s[62:63], vcc
	s_xor_b64 s[62:63], exec, s[62:63]
; %bb.1576:                             ;   in Loop: Header=BB12_1542 Depth=2
	v_bfe_u32 v50, v20, 16, 1
	v_add3_u32 v50, v20, v50, s38
                                        ; implicit-def: $vgpr20
; %bb.1577:                             ;   in Loop: Header=BB12_1542 Depth=2
	s_andn2_saveexec_b64 s[62:63], s[62:63]
; %bb.1578:                             ;   in Loop: Header=BB12_1542 Depth=2
	v_or_b32_e32 v50, 0x10000, v20
	v_cmp_eq_u32_sdwa vcc, v20, v1 src0_sel:WORD_0 src1_sel:DWORD
	v_cndmask_b32_e32 v50, v50, v20, vcc
; %bb.1579:                             ;   in Loop: Header=BB12_1542 Depth=2
	s_or_b64 exec, exec, s[62:63]
	buffer_load_dword v21, off, s[0:3], s33 offset:348 ; 4-byte Folded Reload
	v_lshlrev_b32_e32 v20, 16, v39
	s_waitcnt vmcnt(0)
	v_lshlrev_b32_e32 v39, 16, v21
	v_add_f32_e32 v20, v20, v39
	v_and_b32_e32 v39, 0x7f800000, v20
	v_cmp_ne_u32_e32 vcc, s37, v39
                                        ; implicit-def: $vgpr39
	s_and_saveexec_b64 s[62:63], vcc
	s_xor_b64 s[62:63], exec, s[62:63]
; %bb.1580:                             ;   in Loop: Header=BB12_1542 Depth=2
	v_bfe_u32 v39, v20, 16, 1
	v_add3_u32 v39, v20, v39, s38
                                        ; implicit-def: $vgpr20
; %bb.1581:                             ;   in Loop: Header=BB12_1542 Depth=2
	s_andn2_saveexec_b64 s[62:63], s[62:63]
; %bb.1582:                             ;   in Loop: Header=BB12_1542 Depth=2
	v_or_b32_e32 v39, 0x10000, v20
	v_cmp_eq_u32_sdwa vcc, v20, v1 src0_sel:WORD_0 src1_sel:DWORD
	v_cndmask_b32_e32 v39, v39, v20, vcc
; %bb.1583:                             ;   in Loop: Header=BB12_1542 Depth=2
	s_or_b64 exec, exec, s[62:63]
	buffer_load_dword v21, off, s[0:3], s33 offset:356 ; 4-byte Folded Reload
	v_lshlrev_b32_e32 v20, 16, v35
	s_waitcnt vmcnt(0)
	v_lshlrev_b32_e32 v35, 16, v21
	v_add_f32_e32 v20, v20, v35
	v_and_b32_e32 v35, 0x7f800000, v20
	v_cmp_ne_u32_e32 vcc, s37, v35
                                        ; implicit-def: $vgpr35
	s_and_saveexec_b64 s[62:63], vcc
	s_xor_b64 s[62:63], exec, s[62:63]
; %bb.1584:                             ;   in Loop: Header=BB12_1542 Depth=2
	v_bfe_u32 v35, v20, 16, 1
	v_add3_u32 v35, v20, v35, s38
                                        ; implicit-def: $vgpr20
; %bb.1585:                             ;   in Loop: Header=BB12_1542 Depth=2
	s_andn2_saveexec_b64 s[62:63], s[62:63]
; %bb.1586:                             ;   in Loop: Header=BB12_1542 Depth=2
	v_or_b32_e32 v35, 0x10000, v20
	v_cmp_eq_u32_sdwa vcc, v20, v1 src0_sel:WORD_0 src1_sel:DWORD
	v_cndmask_b32_e32 v35, v35, v20, vcc
; %bb.1587:                             ;   in Loop: Header=BB12_1542 Depth=2
	s_or_b64 exec, exec, s[62:63]
	v_lshlrev_b32_e32 v20, 16, v33
	v_lshlrev_b32_e32 v33, 16, v22
	v_add_f32_e32 v20, v20, v33
	v_and_b32_e32 v33, 0x7f800000, v20
	v_cmp_ne_u32_e32 vcc, s37, v33
                                        ; implicit-def: $vgpr33
	s_and_saveexec_b64 s[62:63], vcc
	s_xor_b64 s[62:63], exec, s[62:63]
; %bb.1588:                             ;   in Loop: Header=BB12_1542 Depth=2
	v_bfe_u32 v33, v20, 16, 1
	v_add3_u32 v33, v20, v33, s38
                                        ; implicit-def: $vgpr20
; %bb.1589:                             ;   in Loop: Header=BB12_1542 Depth=2
	s_andn2_saveexec_b64 s[62:63], s[62:63]
; %bb.1590:                             ;   in Loop: Header=BB12_1542 Depth=2
	v_or_b32_e32 v33, 0x10000, v20
	v_cmp_eq_u32_sdwa vcc, v20, v1 src0_sel:WORD_0 src1_sel:DWORD
	v_cndmask_b32_e32 v33, v33, v20, vcc
; %bb.1591:                             ;   in Loop: Header=BB12_1542 Depth=2
	s_or_b64 exec, exec, s[62:63]
	v_lshlrev_b32_e32 v20, 16, v32
	v_lshlrev_b32_e32 v32, 16, v23
	v_add_f32_e32 v20, v20, v32
	v_and_b32_e32 v32, 0x7f800000, v20
	v_cmp_ne_u32_e32 vcc, s37, v32
                                        ; implicit-def: $vgpr32
	s_and_saveexec_b64 s[62:63], vcc
	s_xor_b64 s[62:63], exec, s[62:63]
; %bb.1592:                             ;   in Loop: Header=BB12_1542 Depth=2
	v_bfe_u32 v32, v20, 16, 1
	v_add3_u32 v32, v20, v32, s38
                                        ; implicit-def: $vgpr20
; %bb.1593:                             ;   in Loop: Header=BB12_1542 Depth=2
	s_andn2_saveexec_b64 s[62:63], s[62:63]
; %bb.1594:                             ;   in Loop: Header=BB12_1542 Depth=2
	v_or_b32_e32 v32, 0x10000, v20
	v_cmp_eq_u32_sdwa vcc, v20, v1 src0_sel:WORD_0 src1_sel:DWORD
	v_cndmask_b32_e32 v32, v32, v20, vcc
; %bb.1595:                             ;   in Loop: Header=BB12_1542 Depth=2
	s_or_b64 exec, exec, s[62:63]
	v_lshlrev_b32_e32 v20, 16, v31
	v_lshlrev_b32_e32 v31, 16, v26
	v_add_f32_e32 v20, v20, v31
	v_and_b32_e32 v31, 0x7f800000, v20
	v_cmp_ne_u32_e32 vcc, s37, v31
                                        ; implicit-def: $vgpr31
	s_and_saveexec_b64 s[62:63], vcc
	s_xor_b64 s[62:63], exec, s[62:63]
; %bb.1596:                             ;   in Loop: Header=BB12_1542 Depth=2
	v_bfe_u32 v31, v20, 16, 1
	v_add3_u32 v31, v20, v31, s38
                                        ; implicit-def: $vgpr20
; %bb.1597:                             ;   in Loop: Header=BB12_1542 Depth=2
	s_andn2_saveexec_b64 s[62:63], s[62:63]
; %bb.1598:                             ;   in Loop: Header=BB12_1542 Depth=2
	v_or_b32_e32 v31, 0x10000, v20
	v_cmp_eq_u32_sdwa vcc, v20, v1 src0_sel:WORD_0 src1_sel:DWORD
	v_cndmask_b32_e32 v31, v31, v20, vcc
; %bb.1599:                             ;   in Loop: Header=BB12_1542 Depth=2
	s_or_b64 exec, exec, s[62:63]
	v_lshlrev_b32_e32 v20, 16, v30
	v_lshlrev_b32_e32 v30, 16, v27
	v_add_f32_e32 v20, v20, v30
	v_and_b32_e32 v30, 0x7f800000, v20
	v_cmp_ne_u32_e32 vcc, s37, v30
                                        ; implicit-def: $vgpr30
	s_and_saveexec_b64 s[62:63], vcc
	s_xor_b64 s[62:63], exec, s[62:63]
; %bb.1600:                             ;   in Loop: Header=BB12_1542 Depth=2
	v_bfe_u32 v30, v20, 16, 1
	v_add3_u32 v30, v20, v30, s38
                                        ; implicit-def: $vgpr20
; %bb.1601:                             ;   in Loop: Header=BB12_1542 Depth=2
	s_andn2_saveexec_b64 s[62:63], s[62:63]
; %bb.1602:                             ;   in Loop: Header=BB12_1542 Depth=2
	v_or_b32_e32 v30, 0x10000, v20
	v_cmp_eq_u32_sdwa vcc, v20, v1 src0_sel:WORD_0 src1_sel:DWORD
	v_cndmask_b32_e32 v30, v30, v20, vcc
; %bb.1603:                             ;   in Loop: Header=BB12_1542 Depth=2
	s_or_b64 exec, exec, s[62:63]
	v_lshlrev_b32_e32 v20, 16, v29
	v_lshlrev_b32_e32 v29, 16, v28
	v_add_f32_e32 v20, v20, v29
	v_and_b32_e32 v29, 0x7f800000, v20
	v_cmp_ne_u32_e32 vcc, s37, v29
                                        ; implicit-def: $vgpr29
	s_and_saveexec_b64 s[62:63], vcc
	s_xor_b64 s[62:63], exec, s[62:63]
; %bb.1604:                             ;   in Loop: Header=BB12_1542 Depth=2
	v_bfe_u32 v29, v20, 16, 1
	v_add3_u32 v29, v20, v29, s38
                                        ; implicit-def: $vgpr20
; %bb.1605:                             ;   in Loop: Header=BB12_1542 Depth=2
	s_andn2_saveexec_b64 s[62:63], s[62:63]
; %bb.1606:                             ;   in Loop: Header=BB12_1542 Depth=2
	v_or_b32_e32 v29, 0x10000, v20
	v_cmp_eq_u32_sdwa vcc, v20, v1 src0_sel:WORD_0 src1_sel:DWORD
	v_cndmask_b32_e32 v29, v29, v20, vcc
; %bb.1607:                             ;   in Loop: Header=BB12_1542 Depth=2
	s_or_b64 exec, exec, s[62:63]
	v_lshrrev_b32_e32 v62, 16, v62
	v_lshrrev_b32_e32 v30, 16, v30
	;; [unrolled: 1-line block ×16, first 2 shown]
	flat_store_short v[2:3], v62 glc slc
	flat_store_short v[2:3], v9 offset:128 glc slc
	flat_store_short v[2:3], v60 offset:256 glc slc
	;; [unrolled: 1-line block ×15, first 2 shown]
	buffer_load_dword v20, off, s[0:3], s33 offset:288 ; 4-byte Folded Reload
	s_waitcnt vmcnt(0)
	v_add_co_u32_e32 v2, vcc, v2, v20
	buffer_load_dword v20, off, s[0:3], s33 offset:296 ; 4-byte Folded Reload
	s_waitcnt vmcnt(0)
	v_addc_co_u32_e32 v3, vcc, v3, v20, vcc
.LBB12_1608:                            ;   in Loop: Header=BB12_1542 Depth=2
	s_or_b64 exec, exec, s[72:73]
	buffer_load_dword v20, off, s[0:3], s33 offset:288 ; 4-byte Folded Reload
	buffer_load_dword v21, off, s[0:3], s33 offset:296 ; 4-byte Folded Reload
	s_waitcnt vmcnt(0)
	v_add_co_u32_e32 v4, vcc, v4, v20
	v_addc_co_u32_e32 v5, vcc, v5, v21, vcc
	v_add_co_u32_e32 v6, vcc, v6, v20
	buffer_load_dword v20, off, s[0:3], s33 offset:232 ; 4-byte Folded Reload
	v_addc_co_u32_e32 v7, vcc, v7, v21, vcc
	s_waitcnt vmcnt(0)
	v_sub_u32_e32 v10, v10, v20
	v_cmp_lt_i32_e64 s[62:63], 0, v10
	s_and_saveexec_b64 s[72:73], s[62:63]
	s_cbranch_execz .LBB12_1610
; %bb.1609:                             ;   in Loop: Header=BB12_1542 Depth=2
	flat_load_ushort v62, v[4:5] glc slc
	flat_load_ushort v9, v[4:5] offset:128 glc slc
	flat_load_ushort v60, v[4:5] offset:256 glc slc
	;; [unrolled: 1-line block ×15, first 2 shown]
	flat_load_ushort v20, v[6:7] glc slc
	v_add_co_u32_e32 v4, vcc, s36, v4
	v_addc_co_u32_e32 v5, vcc, 0, v5, vcc
	s_waitcnt vmcnt(0) lgkmcnt(0)
	buffer_store_dword v20, off, s[0:3], s33 offset:168 ; 4-byte Folded Spill
	flat_load_ushort v20, v[6:7] offset:128 glc slc
	s_waitcnt vmcnt(0) lgkmcnt(0)
	buffer_store_dword v20, off, s[0:3], s33 offset:184 ; 4-byte Folded Spill
	flat_load_ushort v20, v[6:7] offset:256 glc slc
	;; [unrolled: 3-line block ×11, first 2 shown]
	flat_load_ushort v23, v[6:7] offset:1536 glc slc
	flat_load_ushort v26, v[6:7] offset:1664 glc slc
	;; [unrolled: 1-line block ×4, first 2 shown]
	v_add_co_u32_e32 v6, vcc, 0x800, v6
	v_addc_co_u32_e32 v7, vcc, 0, v7, vcc
.LBB12_1610:                            ;   in Loop: Header=BB12_1542 Depth=2
	s_or_b64 exec, exec, s[72:73]
	s_waitcnt lgkmcnt(0)
	v_lshlrev_b32_e32 v18, 16, v18
	v_lshlrev_b32_e32 v19, 16, v19
	v_add_f32_e32 v19, v18, v19
	v_and_b32_e32 v18, 0x7f800000, v19
	v_cmp_ne_u32_e32 vcc, s37, v18
                                        ; implicit-def: $vgpr18
	s_and_saveexec_b64 s[72:73], vcc
	s_xor_b64 s[72:73], exec, s[72:73]
; %bb.1611:                             ;   in Loop: Header=BB12_1542 Depth=2
	v_bfe_u32 v18, v19, 16, 1
	v_add3_u32 v18, v19, v18, s38
                                        ; implicit-def: $vgpr19
; %bb.1612:                             ;   in Loop: Header=BB12_1542 Depth=2
	s_andn2_saveexec_b64 s[72:73], s[72:73]
; %bb.1613:                             ;   in Loop: Header=BB12_1542 Depth=2
	v_or_b32_e32 v18, 0x10000, v19
	v_cmp_eq_u32_sdwa vcc, v19, v1 src0_sel:WORD_0 src1_sel:DWORD
	v_cndmask_b32_e32 v18, v18, v19, vcc
; %bb.1614:                             ;   in Loop: Header=BB12_1542 Depth=2
	s_or_b64 exec, exec, s[72:73]
	v_lshlrev_b32_e32 v16, 16, v16
	v_lshlrev_b32_e32 v17, 16, v17
	v_add_f32_e32 v17, v16, v17
	v_and_b32_e32 v16, 0x7f800000, v17
	v_cmp_ne_u32_e32 vcc, s37, v16
                                        ; implicit-def: $vgpr16
	s_and_saveexec_b64 s[72:73], vcc
	s_xor_b64 s[72:73], exec, s[72:73]
; %bb.1615:                             ;   in Loop: Header=BB12_1542 Depth=2
	v_bfe_u32 v16, v17, 16, 1
	v_add3_u32 v16, v17, v16, s38
                                        ; implicit-def: $vgpr17
; %bb.1616:                             ;   in Loop: Header=BB12_1542 Depth=2
	s_andn2_saveexec_b64 s[72:73], s[72:73]
; %bb.1617:                             ;   in Loop: Header=BB12_1542 Depth=2
	v_or_b32_e32 v16, 0x10000, v17
	v_cmp_eq_u32_sdwa vcc, v17, v1 src0_sel:WORD_0 src1_sel:DWORD
	v_cndmask_b32_e32 v16, v16, v17, vcc
; %bb.1618:                             ;   in Loop: Header=BB12_1542 Depth=2
	s_or_b64 exec, exec, s[72:73]
	v_lshlrev_b32_e32 v14, 16, v14
	v_lshlrev_b32_e32 v15, 16, v15
	v_add_f32_e32 v15, v14, v15
	v_and_b32_e32 v14, 0x7f800000, v15
	v_cmp_ne_u32_e32 vcc, s37, v14
                                        ; implicit-def: $vgpr14
	s_and_saveexec_b64 s[72:73], vcc
	s_xor_b64 s[72:73], exec, s[72:73]
; %bb.1619:                             ;   in Loop: Header=BB12_1542 Depth=2
	v_bfe_u32 v14, v15, 16, 1
	v_add3_u32 v14, v15, v14, s38
                                        ; implicit-def: $vgpr15
; %bb.1620:                             ;   in Loop: Header=BB12_1542 Depth=2
	s_andn2_saveexec_b64 s[72:73], s[72:73]
; %bb.1621:                             ;   in Loop: Header=BB12_1542 Depth=2
	v_or_b32_e32 v14, 0x10000, v15
	v_cmp_eq_u32_sdwa vcc, v15, v1 src0_sel:WORD_0 src1_sel:DWORD
	v_cndmask_b32_e32 v14, v14, v15, vcc
; %bb.1622:                             ;   in Loop: Header=BB12_1542 Depth=2
	s_or_b64 exec, exec, s[72:73]
	v_lshlrev_b32_e32 v12, 16, v12
	v_lshlrev_b32_e32 v13, 16, v13
	v_add_f32_e32 v13, v12, v13
	v_and_b32_e32 v12, 0x7f800000, v13
	v_cmp_ne_u32_e32 vcc, s37, v12
                                        ; implicit-def: $vgpr12
	s_and_saveexec_b64 s[72:73], vcc
	s_xor_b64 s[72:73], exec, s[72:73]
; %bb.1623:                             ;   in Loop: Header=BB12_1542 Depth=2
	v_bfe_u32 v12, v13, 16, 1
	v_add3_u32 v12, v13, v12, s38
                                        ; implicit-def: $vgpr13
; %bb.1624:                             ;   in Loop: Header=BB12_1542 Depth=2
	s_andn2_saveexec_b64 s[72:73], s[72:73]
; %bb.1625:                             ;   in Loop: Header=BB12_1542 Depth=2
	v_or_b32_e32 v12, 0x10000, v13
	v_cmp_eq_u32_sdwa vcc, v13, v1 src0_sel:WORD_0 src1_sel:DWORD
	v_cndmask_b32_e32 v12, v12, v13, vcc
; %bb.1626:                             ;   in Loop: Header=BB12_1542 Depth=2
	s_or_b64 exec, exec, s[72:73]
	v_lshlrev_b32_e32 v8, 16, v8
	v_lshlrev_b32_e32 v11, 16, v11
	v_add_f32_e32 v11, v8, v11
	v_and_b32_e32 v8, 0x7f800000, v11
	v_cmp_ne_u32_e32 vcc, s37, v8
                                        ; implicit-def: $vgpr8
	s_and_saveexec_b64 s[72:73], vcc
	s_xor_b64 s[72:73], exec, s[72:73]
; %bb.1627:                             ;   in Loop: Header=BB12_1542 Depth=2
	v_bfe_u32 v8, v11, 16, 1
	v_add3_u32 v8, v11, v8, s38
                                        ; implicit-def: $vgpr11
; %bb.1628:                             ;   in Loop: Header=BB12_1542 Depth=2
	s_andn2_saveexec_b64 s[72:73], s[72:73]
; %bb.1629:                             ;   in Loop: Header=BB12_1542 Depth=2
	v_or_b32_e32 v8, 0x10000, v11
	v_cmp_eq_u32_sdwa vcc, v11, v1 src0_sel:WORD_0 src1_sel:DWORD
	v_cndmask_b32_e32 v8, v8, v11, vcc
; %bb.1630:                             ;   in Loop: Header=BB12_1542 Depth=2
	s_or_b64 exec, exec, s[72:73]
	v_lshlrev_b32_e32 v11, 16, v24
	v_lshlrev_b32_e32 v0, 16, v0
	v_add_f32_e32 v11, v11, v0
	v_and_b32_e32 v0, 0x7f800000, v11
	v_cmp_ne_u32_e32 vcc, s37, v0
                                        ; implicit-def: $vgpr0
	s_and_saveexec_b64 s[72:73], vcc
	s_xor_b64 s[72:73], exec, s[72:73]
; %bb.1631:                             ;   in Loop: Header=BB12_1542 Depth=2
	v_bfe_u32 v0, v11, 16, 1
	v_add3_u32 v0, v11, v0, s38
                                        ; implicit-def: $vgpr11
; %bb.1632:                             ;   in Loop: Header=BB12_1542 Depth=2
	s_andn2_saveexec_b64 s[72:73], s[72:73]
; %bb.1633:                             ;   in Loop: Header=BB12_1542 Depth=2
	v_or_b32_e32 v0, 0x10000, v11
	v_cmp_eq_u32_sdwa vcc, v11, v1 src0_sel:WORD_0 src1_sel:DWORD
	v_cndmask_b32_e32 v0, v0, v11, vcc
; %bb.1634:                             ;   in Loop: Header=BB12_1542 Depth=2
	s_or_b64 exec, exec, s[72:73]
	v_lshlrev_b32_e32 v11, 16, v59
	v_lshlrev_b32_e32 v13, 16, v61
	v_add_f32_e32 v13, v11, v13
	v_and_b32_e32 v11, 0x7f800000, v13
	v_cmp_ne_u32_e32 vcc, s37, v11
                                        ; implicit-def: $vgpr11
	s_and_saveexec_b64 s[72:73], vcc
	s_xor_b64 s[72:73], exec, s[72:73]
; %bb.1635:                             ;   in Loop: Header=BB12_1542 Depth=2
	v_bfe_u32 v11, v13, 16, 1
	v_add3_u32 v11, v13, v11, s38
                                        ; implicit-def: $vgpr13
; %bb.1636:                             ;   in Loop: Header=BB12_1542 Depth=2
	s_andn2_saveexec_b64 s[72:73], s[72:73]
; %bb.1637:                             ;   in Loop: Header=BB12_1542 Depth=2
	v_or_b32_e32 v11, 0x10000, v13
	v_cmp_eq_u32_sdwa vcc, v13, v1 src0_sel:WORD_0 src1_sel:DWORD
	v_cndmask_b32_e32 v11, v11, v13, vcc
; %bb.1638:                             ;   in Loop: Header=BB12_1542 Depth=2
	s_or_b64 exec, exec, s[72:73]
	v_lshlrev_b32_e32 v13, 16, v57
	v_lshlrev_b32_e32 v15, 16, v58
	v_add_f32_e32 v15, v13, v15
	v_and_b32_e32 v13, 0x7f800000, v15
	v_cmp_ne_u32_e32 vcc, s37, v13
                                        ; implicit-def: $vgpr13
	s_and_saveexec_b64 s[72:73], vcc
	s_xor_b64 s[72:73], exec, s[72:73]
; %bb.1639:                             ;   in Loop: Header=BB12_1542 Depth=2
	v_bfe_u32 v13, v15, 16, 1
	v_add3_u32 v13, v15, v13, s38
                                        ; implicit-def: $vgpr15
; %bb.1640:                             ;   in Loop: Header=BB12_1542 Depth=2
	s_andn2_saveexec_b64 s[72:73], s[72:73]
; %bb.1641:                             ;   in Loop: Header=BB12_1542 Depth=2
	v_or_b32_e32 v13, 0x10000, v15
	v_cmp_eq_u32_sdwa vcc, v15, v1 src0_sel:WORD_0 src1_sel:DWORD
	v_cndmask_b32_e32 v13, v13, v15, vcc
; %bb.1642:                             ;   in Loop: Header=BB12_1542 Depth=2
	s_or_b64 exec, exec, s[72:73]
	v_lshlrev_b32_e32 v15, 16, v47
	v_lshlrev_b32_e32 v17, 16, v56
	v_add_f32_e32 v17, v15, v17
	v_and_b32_e32 v15, 0x7f800000, v17
	v_cmp_ne_u32_e32 vcc, s37, v15
                                        ; implicit-def: $vgpr15
	s_and_saveexec_b64 s[72:73], vcc
	s_xor_b64 s[72:73], exec, s[72:73]
; %bb.1643:                             ;   in Loop: Header=BB12_1542 Depth=2
	v_bfe_u32 v15, v17, 16, 1
	v_add3_u32 v15, v17, v15, s38
                                        ; implicit-def: $vgpr17
; %bb.1644:                             ;   in Loop: Header=BB12_1542 Depth=2
	s_andn2_saveexec_b64 s[72:73], s[72:73]
; %bb.1645:                             ;   in Loop: Header=BB12_1542 Depth=2
	v_or_b32_e32 v15, 0x10000, v17
	v_cmp_eq_u32_sdwa vcc, v17, v1 src0_sel:WORD_0 src1_sel:DWORD
	v_cndmask_b32_e32 v15, v15, v17, vcc
; %bb.1646:                             ;   in Loop: Header=BB12_1542 Depth=2
	s_or_b64 exec, exec, s[72:73]
	v_lshlrev_b32_e32 v17, 16, v44
	v_lshlrev_b32_e32 v19, 16, v45
	v_add_f32_e32 v19, v17, v19
	v_and_b32_e32 v17, 0x7f800000, v19
	v_cmp_ne_u32_e32 vcc, s37, v17
                                        ; implicit-def: $vgpr17
	s_and_saveexec_b64 s[72:73], vcc
	s_xor_b64 s[72:73], exec, s[72:73]
; %bb.1647:                             ;   in Loop: Header=BB12_1542 Depth=2
	v_bfe_u32 v17, v19, 16, 1
	v_add3_u32 v17, v19, v17, s38
                                        ; implicit-def: $vgpr19
; %bb.1648:                             ;   in Loop: Header=BB12_1542 Depth=2
	s_andn2_saveexec_b64 s[72:73], s[72:73]
; %bb.1649:                             ;   in Loop: Header=BB12_1542 Depth=2
	v_or_b32_e32 v17, 0x10000, v19
	v_cmp_eq_u32_sdwa vcc, v19, v1 src0_sel:WORD_0 src1_sel:DWORD
	v_cndmask_b32_e32 v17, v17, v19, vcc
; %bb.1650:                             ;   in Loop: Header=BB12_1542 Depth=2
	s_or_b64 exec, exec, s[72:73]
	v_lshlrev_b32_e32 v19, 16, v41
	v_lshlrev_b32_e32 v20, 16, v42
	v_add_f32_e32 v20, v19, v20
	v_and_b32_e32 v19, 0x7f800000, v20
	v_cmp_ne_u32_e32 vcc, s37, v19
                                        ; implicit-def: $vgpr19
	s_and_saveexec_b64 s[72:73], vcc
	s_xor_b64 s[72:73], exec, s[72:73]
; %bb.1651:                             ;   in Loop: Header=BB12_1542 Depth=2
	v_bfe_u32 v19, v20, 16, 1
	v_add3_u32 v19, v20, v19, s38
                                        ; implicit-def: $vgpr20
; %bb.1652:                             ;   in Loop: Header=BB12_1542 Depth=2
	s_andn2_saveexec_b64 s[72:73], s[72:73]
; %bb.1653:                             ;   in Loop: Header=BB12_1542 Depth=2
	v_or_b32_e32 v19, 0x10000, v20
	v_cmp_eq_u32_sdwa vcc, v20, v1 src0_sel:WORD_0 src1_sel:DWORD
	v_cndmask_b32_e32 v19, v19, v20, vcc
; %bb.1654:                             ;   in Loop: Header=BB12_1542 Depth=2
	s_or_b64 exec, exec, s[72:73]
	v_lshlrev_b32_e32 v20, 16, v54
	v_lshlrev_b32_e32 v24, 16, v55
	v_add_f32_e32 v20, v20, v24
	v_and_b32_e32 v24, 0x7f800000, v20
	v_cmp_ne_u32_e32 vcc, s37, v24
                                        ; implicit-def: $vgpr24
	s_and_saveexec_b64 s[72:73], vcc
	s_xor_b64 s[72:73], exec, s[72:73]
; %bb.1655:                             ;   in Loop: Header=BB12_1542 Depth=2
	v_bfe_u32 v24, v20, 16, 1
	v_add3_u32 v24, v20, v24, s38
                                        ; implicit-def: $vgpr20
; %bb.1656:                             ;   in Loop: Header=BB12_1542 Depth=2
	s_andn2_saveexec_b64 s[72:73], s[72:73]
; %bb.1657:                             ;   in Loop: Header=BB12_1542 Depth=2
	v_or_b32_e32 v24, 0x10000, v20
	v_cmp_eq_u32_sdwa vcc, v20, v1 src0_sel:WORD_0 src1_sel:DWORD
	v_cndmask_b32_e32 v24, v24, v20, vcc
; %bb.1658:                             ;   in Loop: Header=BB12_1542 Depth=2
	s_or_b64 exec, exec, s[72:73]
	v_lshlrev_b32_e32 v20, 16, v51
	v_lshlrev_b32_e32 v51, 16, v52
	v_add_f32_e32 v20, v20, v51
	v_and_b32_e32 v51, 0x7f800000, v20
	v_cmp_ne_u32_e32 vcc, s37, v51
                                        ; implicit-def: $vgpr51
	s_and_saveexec_b64 s[72:73], vcc
	s_xor_b64 s[72:73], exec, s[72:73]
; %bb.1659:                             ;   in Loop: Header=BB12_1542 Depth=2
	v_bfe_u32 v51, v20, 16, 1
	v_add3_u32 v51, v20, v51, s38
                                        ; implicit-def: $vgpr20
; %bb.1660:                             ;   in Loop: Header=BB12_1542 Depth=2
	s_andn2_saveexec_b64 s[72:73], s[72:73]
; %bb.1661:                             ;   in Loop: Header=BB12_1542 Depth=2
	v_or_b32_e32 v51, 0x10000, v20
	v_cmp_eq_u32_sdwa vcc, v20, v1 src0_sel:WORD_0 src1_sel:DWORD
	v_cndmask_b32_e32 v51, v51, v20, vcc
; %bb.1662:                             ;   in Loop: Header=BB12_1542 Depth=2
	s_or_b64 exec, exec, s[72:73]
	v_lshlrev_b32_e32 v20, 16, v48
	v_lshlrev_b32_e32 v48, 16, v49
	v_add_f32_e32 v20, v20, v48
	v_and_b32_e32 v48, 0x7f800000, v20
	v_cmp_ne_u32_e32 vcc, s37, v48
                                        ; implicit-def: $vgpr48
	s_and_saveexec_b64 s[72:73], vcc
	s_xor_b64 s[72:73], exec, s[72:73]
; %bb.1663:                             ;   in Loop: Header=BB12_1542 Depth=2
	v_bfe_u32 v48, v20, 16, 1
	v_add3_u32 v48, v20, v48, s38
                                        ; implicit-def: $vgpr20
; %bb.1664:                             ;   in Loop: Header=BB12_1542 Depth=2
	s_andn2_saveexec_b64 s[72:73], s[72:73]
; %bb.1665:                             ;   in Loop: Header=BB12_1542 Depth=2
	v_or_b32_e32 v48, 0x10000, v20
	v_cmp_eq_u32_sdwa vcc, v20, v1 src0_sel:WORD_0 src1_sel:DWORD
	v_cndmask_b32_e32 v48, v48, v20, vcc
; %bb.1666:                             ;   in Loop: Header=BB12_1542 Depth=2
	s_or_b64 exec, exec, s[72:73]
	v_lshlrev_b32_e32 v20, 16, v37
	v_lshlrev_b32_e32 v37, 16, v38
	v_add_f32_e32 v20, v20, v37
	v_and_b32_e32 v37, 0x7f800000, v20
	v_cmp_ne_u32_e32 vcc, s37, v37
                                        ; implicit-def: $vgpr37
	s_and_saveexec_b64 s[72:73], vcc
	s_xor_b64 s[72:73], exec, s[72:73]
; %bb.1667:                             ;   in Loop: Header=BB12_1542 Depth=2
	v_bfe_u32 v37, v20, 16, 1
	v_add3_u32 v37, v20, v37, s38
                                        ; implicit-def: $vgpr20
; %bb.1668:                             ;   in Loop: Header=BB12_1542 Depth=2
	s_andn2_saveexec_b64 s[72:73], s[72:73]
; %bb.1669:                             ;   in Loop: Header=BB12_1542 Depth=2
	v_or_b32_e32 v37, 0x10000, v20
	v_cmp_eq_u32_sdwa vcc, v20, v1 src0_sel:WORD_0 src1_sel:DWORD
	v_cndmask_b32_e32 v37, v37, v20, vcc
; %bb.1670:                             ;   in Loop: Header=BB12_1542 Depth=2
	s_or_b64 exec, exec, s[72:73]
	v_lshlrev_b32_e32 v20, 16, v34
	v_lshlrev_b32_e32 v34, 16, v36
	v_add_f32_e32 v20, v20, v34
	v_and_b32_e32 v34, 0x7f800000, v20
	v_cmp_ne_u32_e32 vcc, s37, v34
                                        ; implicit-def: $vgpr34
	s_and_saveexec_b64 s[72:73], vcc
	s_xor_b64 s[72:73], exec, s[72:73]
; %bb.1671:                             ;   in Loop: Header=BB12_1542 Depth=2
	v_bfe_u32 v34, v20, 16, 1
	v_add3_u32 v34, v20, v34, s38
                                        ; implicit-def: $vgpr20
; %bb.1672:                             ;   in Loop: Header=BB12_1542 Depth=2
	s_andn2_saveexec_b64 s[72:73], s[72:73]
	s_cbranch_execz .LBB12_1541
; %bb.1673:                             ;   in Loop: Header=BB12_1542 Depth=2
	v_or_b32_e32 v34, 0x10000, v20
	v_cmp_eq_u32_sdwa vcc, v20, v1 src0_sel:WORD_0 src1_sel:DWORD
	v_cndmask_b32_e32 v34, v34, v20, vcc
	s_branch .LBB12_1541
.LBB12_1674:                            ;   in Loop: Header=BB12_952 Depth=1
	s_or_b64 exec, exec, s[60:61]
	buffer_load_dword v0, off, s[0:3], s33 offset:168 ; 4-byte Folded Reload
	v_lshlrev_b32_e32 v16, 16, v60
	v_lshlrev_b32_e32 v19, 16, v25
	;; [unrolled: 1-line block ×20, first 2 shown]
	s_and_b64 s[58:59], s[58:59], exec
	s_waitcnt vmcnt(0)
	v_lshlrev_b32_e32 v45, 16, v0
	buffer_load_dword v0, off, s[0:3], s33 offset:184 ; 4-byte Folded Reload
	s_waitcnt vmcnt(0)
	v_lshlrev_b32_e32 v42, 16, v0
	buffer_load_dword v0, off, s[0:3], s33 offset:200 ; 4-byte Folded Reload
	;; [unrolled: 3-line block ×10, first 2 shown]
	buffer_load_dword v53, off, s[0:3], s33 offset:456 ; 4-byte Folded Reload
	buffer_load_dword v50, off, s[0:3], s33 offset:516 ; 4-byte Folded Reload
	;; [unrolled: 1-line block ×11, first 2 shown]
	s_waitcnt vmcnt(0)
	v_lshlrev_b32_e32 v18, 16, v0
	v_lshlrev_b32_e32 v0, 16, v29
.LBB12_1675:                            ;   in Loop: Header=BB12_952 Depth=1
	s_or_b64 exec, exec, s[18:19]
	s_and_saveexec_b64 s[18:19], s[58:59]
	s_cbranch_execz .LBB12_1741
; %bb.1676:                             ;   in Loop: Header=BB12_952 Depth=1
	v_add_f32_e32 v21, v45, v44
	v_and_b32_e32 v9, 0x7f800000, v21
	v_cmp_ne_u32_e32 vcc, s37, v9
                                        ; implicit-def: $vgpr9
	s_and_saveexec_b64 s[58:59], vcc
	s_xor_b64 s[58:59], exec, s[58:59]
; %bb.1677:                             ;   in Loop: Header=BB12_952 Depth=1
	v_bfe_u32 v9, v21, 16, 1
	v_add3_u32 v9, v21, v9, s38
                                        ; implicit-def: $vgpr21
; %bb.1678:                             ;   in Loop: Header=BB12_952 Depth=1
	s_andn2_saveexec_b64 s[58:59], s[58:59]
; %bb.1679:                             ;   in Loop: Header=BB12_952 Depth=1
	v_or_b32_e32 v9, 0x10000, v21
	v_cmp_eq_u32_sdwa vcc, v21, v1 src0_sel:WORD_0 src1_sel:DWORD
	v_cndmask_b32_e32 v9, v9, v21, vcc
; %bb.1680:                             ;   in Loop: Header=BB12_952 Depth=1
	s_or_b64 exec, exec, s[58:59]
	v_add_f32_e32 v21, v42, v13
	v_and_b32_e32 v13, 0x7f800000, v21
	v_cmp_ne_u32_e32 vcc, s37, v13
                                        ; implicit-def: $vgpr13
	s_and_saveexec_b64 s[58:59], vcc
	s_xor_b64 s[58:59], exec, s[58:59]
; %bb.1681:                             ;   in Loop: Header=BB12_952 Depth=1
	v_bfe_u32 v13, v21, 16, 1
	v_add3_u32 v13, v21, v13, s38
                                        ; implicit-def: $vgpr21
; %bb.1682:                             ;   in Loop: Header=BB12_952 Depth=1
	s_andn2_saveexec_b64 s[58:59], s[58:59]
; %bb.1683:                             ;   in Loop: Header=BB12_952 Depth=1
	v_or_b32_e32 v13, 0x10000, v21
	v_cmp_eq_u32_sdwa vcc, v21, v1 src0_sel:WORD_0 src1_sel:DWORD
	v_cndmask_b32_e32 v13, v13, v21, vcc
; %bb.1684:                             ;   in Loop: Header=BB12_952 Depth=1
	s_or_b64 exec, exec, s[58:59]
	v_add_f32_e32 v21, v41, v16
	v_and_b32_e32 v16, 0x7f800000, v21
	v_cmp_ne_u32_e32 vcc, s37, v16
                                        ; implicit-def: $vgpr16
	s_and_saveexec_b64 s[58:59], vcc
	s_xor_b64 s[58:59], exec, s[58:59]
; %bb.1685:                             ;   in Loop: Header=BB12_952 Depth=1
	v_bfe_u32 v16, v21, 16, 1
	v_add3_u32 v16, v21, v16, s38
                                        ; implicit-def: $vgpr21
; %bb.1686:                             ;   in Loop: Header=BB12_952 Depth=1
	s_andn2_saveexec_b64 s[58:59], s[58:59]
; %bb.1687:                             ;   in Loop: Header=BB12_952 Depth=1
	v_or_b32_e32 v16, 0x10000, v21
	v_cmp_eq_u32_sdwa vcc, v21, v1 src0_sel:WORD_0 src1_sel:DWORD
	v_cndmask_b32_e32 v16, v16, v21, vcc
; %bb.1688:                             ;   in Loop: Header=BB12_952 Depth=1
	s_or_b64 exec, exec, s[58:59]
	v_add_f32_e32 v21, v55, v19
	v_and_b32_e32 v19, 0x7f800000, v21
	v_cmp_ne_u32_e32 vcc, s37, v19
                                        ; implicit-def: $vgpr19
	s_and_saveexec_b64 s[58:59], vcc
	s_xor_b64 s[58:59], exec, s[58:59]
; %bb.1689:                             ;   in Loop: Header=BB12_952 Depth=1
	v_bfe_u32 v19, v21, 16, 1
	v_add3_u32 v19, v21, v19, s38
                                        ; implicit-def: $vgpr21
; %bb.1690:                             ;   in Loop: Header=BB12_952 Depth=1
	s_andn2_saveexec_b64 s[58:59], s[58:59]
; %bb.1691:                             ;   in Loop: Header=BB12_952 Depth=1
	v_or_b32_e32 v19, 0x10000, v21
	v_cmp_eq_u32_sdwa vcc, v21, v1 src0_sel:WORD_0 src1_sel:DWORD
	v_cndmask_b32_e32 v19, v19, v21, vcc
; %bb.1692:                             ;   in Loop: Header=BB12_952 Depth=1
	s_or_b64 exec, exec, s[58:59]
	v_add_f32_e32 v22, v54, v52
	v_and_b32_e32 v21, 0x7f800000, v22
	v_cmp_ne_u32_e32 vcc, s37, v21
                                        ; implicit-def: $vgpr21
	s_and_saveexec_b64 s[58:59], vcc
	s_xor_b64 s[58:59], exec, s[58:59]
; %bb.1693:                             ;   in Loop: Header=BB12_952 Depth=1
	v_bfe_u32 v21, v22, 16, 1
	v_add3_u32 v21, v22, v21, s38
                                        ; implicit-def: $vgpr22
; %bb.1694:                             ;   in Loop: Header=BB12_952 Depth=1
	s_andn2_saveexec_b64 s[58:59], s[58:59]
; %bb.1695:                             ;   in Loop: Header=BB12_952 Depth=1
	v_or_b32_e32 v21, 0x10000, v22
	v_cmp_eq_u32_sdwa vcc, v22, v1 src0_sel:WORD_0 src1_sel:DWORD
	v_cndmask_b32_e32 v21, v21, v22, vcc
; %bb.1696:                             ;   in Loop: Header=BB12_952 Depth=1
	s_or_b64 exec, exec, s[58:59]
	v_add_f32_e32 v23, v51, v49
	v_and_b32_e32 v22, 0x7f800000, v23
	v_cmp_ne_u32_e32 vcc, s37, v22
                                        ; implicit-def: $vgpr22
	s_and_saveexec_b64 s[58:59], vcc
	s_xor_b64 s[58:59], exec, s[58:59]
; %bb.1697:                             ;   in Loop: Header=BB12_952 Depth=1
	v_bfe_u32 v22, v23, 16, 1
	v_add3_u32 v22, v23, v22, s38
                                        ; implicit-def: $vgpr23
; %bb.1698:                             ;   in Loop: Header=BB12_952 Depth=1
	s_andn2_saveexec_b64 s[58:59], s[58:59]
; %bb.1699:                             ;   in Loop: Header=BB12_952 Depth=1
	v_or_b32_e32 v22, 0x10000, v23
	v_cmp_eq_u32_sdwa vcc, v23, v1 src0_sel:WORD_0 src1_sel:DWORD
	v_cndmask_b32_e32 v22, v22, v23, vcc
; %bb.1700:                             ;   in Loop: Header=BB12_952 Depth=1
	s_or_b64 exec, exec, s[58:59]
	v_add_f32_e32 v26, v48, v38
	v_and_b32_e32 v23, 0x7f800000, v26
	v_cmp_ne_u32_e32 vcc, s37, v23
                                        ; implicit-def: $vgpr23
	s_and_saveexec_b64 s[58:59], vcc
	s_xor_b64 s[58:59], exec, s[58:59]
; %bb.1701:                             ;   in Loop: Header=BB12_952 Depth=1
	v_bfe_u32 v23, v26, 16, 1
	v_add3_u32 v23, v26, v23, s38
                                        ; implicit-def: $vgpr26
; %bb.1702:                             ;   in Loop: Header=BB12_952 Depth=1
	s_andn2_saveexec_b64 s[58:59], s[58:59]
; %bb.1703:                             ;   in Loop: Header=BB12_952 Depth=1
	v_or_b32_e32 v23, 0x10000, v26
	v_cmp_eq_u32_sdwa vcc, v26, v1 src0_sel:WORD_0 src1_sel:DWORD
	v_cndmask_b32_e32 v23, v23, v26, vcc
; %bb.1704:                             ;   in Loop: Header=BB12_952 Depth=1
	s_or_b64 exec, exec, s[58:59]
	v_add_f32_e32 v27, v37, v36
	v_and_b32_e32 v26, 0x7f800000, v27
	v_cmp_ne_u32_e32 vcc, s37, v26
                                        ; implicit-def: $vgpr26
	s_and_saveexec_b64 s[58:59], vcc
	s_xor_b64 s[58:59], exec, s[58:59]
; %bb.1705:                             ;   in Loop: Header=BB12_952 Depth=1
	v_bfe_u32 v26, v27, 16, 1
	v_add3_u32 v26, v27, v26, s38
                                        ; implicit-def: $vgpr27
; %bb.1706:                             ;   in Loop: Header=BB12_952 Depth=1
	s_andn2_saveexec_b64 s[58:59], s[58:59]
; %bb.1707:                             ;   in Loop: Header=BB12_952 Depth=1
	v_or_b32_e32 v26, 0x10000, v27
	v_cmp_eq_u32_sdwa vcc, v27, v1 src0_sel:WORD_0 src1_sel:DWORD
	v_cndmask_b32_e32 v26, v26, v27, vcc
; %bb.1708:                             ;   in Loop: Header=BB12_952 Depth=1
	s_or_b64 exec, exec, s[58:59]
	v_add_f32_e32 v27, v34, v25
	v_and_b32_e32 v25, 0x7f800000, v27
	v_cmp_ne_u32_e32 vcc, s37, v25
                                        ; implicit-def: $vgpr25
	s_and_saveexec_b64 s[58:59], vcc
	s_xor_b64 s[58:59], exec, s[58:59]
; %bb.1709:                             ;   in Loop: Header=BB12_952 Depth=1
	v_bfe_u32 v25, v27, 16, 1
	v_add3_u32 v25, v27, v25, s38
                                        ; implicit-def: $vgpr27
; %bb.1710:                             ;   in Loop: Header=BB12_952 Depth=1
	s_andn2_saveexec_b64 s[58:59], s[58:59]
; %bb.1711:                             ;   in Loop: Header=BB12_952 Depth=1
	v_or_b32_e32 v25, 0x10000, v27
	v_cmp_eq_u32_sdwa vcc, v27, v1 src0_sel:WORD_0 src1_sel:DWORD
	v_cndmask_b32_e32 v25, v25, v27, vcc
; %bb.1712:                             ;   in Loop: Header=BB12_952 Depth=1
	s_or_b64 exec, exec, s[58:59]
	v_add_f32_e32 v24, v20, v24
	v_and_b32_e32 v20, 0x7f800000, v24
	v_cmp_ne_u32_e32 vcc, s37, v20
                                        ; implicit-def: $vgpr20
	s_and_saveexec_b64 s[58:59], vcc
	s_xor_b64 s[58:59], exec, s[58:59]
; %bb.1713:                             ;   in Loop: Header=BB12_952 Depth=1
	v_bfe_u32 v20, v24, 16, 1
	v_add3_u32 v20, v24, v20, s38
                                        ; implicit-def: $vgpr24
; %bb.1714:                             ;   in Loop: Header=BB12_952 Depth=1
	s_andn2_saveexec_b64 s[58:59], s[58:59]
; %bb.1715:                             ;   in Loop: Header=BB12_952 Depth=1
	v_or_b32_e32 v20, 0x10000, v24
	v_cmp_eq_u32_sdwa vcc, v24, v1 src0_sel:WORD_0 src1_sel:DWORD
	v_cndmask_b32_e32 v20, v20, v24, vcc
; %bb.1716:                             ;   in Loop: Header=BB12_952 Depth=1
	s_or_b64 exec, exec, s[58:59]
	v_add_f32_e32 v18, v18, v17
	v_and_b32_e32 v17, 0x7f800000, v18
	v_cmp_ne_u32_e32 vcc, s37, v17
                                        ; implicit-def: $vgpr17
	s_and_saveexec_b64 s[58:59], vcc
	s_xor_b64 s[58:59], exec, s[58:59]
; %bb.1717:                             ;   in Loop: Header=BB12_952 Depth=1
	v_bfe_u32 v17, v18, 16, 1
	v_add3_u32 v17, v18, v17, s38
                                        ; implicit-def: $vgpr18
; %bb.1718:                             ;   in Loop: Header=BB12_952 Depth=1
	s_andn2_saveexec_b64 s[58:59], s[58:59]
; %bb.1719:                             ;   in Loop: Header=BB12_952 Depth=1
	v_or_b32_e32 v17, 0x10000, v18
	v_cmp_eq_u32_sdwa vcc, v18, v1 src0_sel:WORD_0 src1_sel:DWORD
	v_cndmask_b32_e32 v17, v17, v18, vcc
; %bb.1720:                             ;   in Loop: Header=BB12_952 Depth=1
	s_or_b64 exec, exec, s[58:59]
	v_add_f32_e32 v15, v15, v14
	v_and_b32_e32 v14, 0x7f800000, v15
	v_cmp_ne_u32_e32 vcc, s37, v14
                                        ; implicit-def: $vgpr14
	s_and_saveexec_b64 s[58:59], vcc
	s_xor_b64 s[58:59], exec, s[58:59]
; %bb.1721:                             ;   in Loop: Header=BB12_952 Depth=1
	v_bfe_u32 v14, v15, 16, 1
	v_add3_u32 v14, v15, v14, s38
                                        ; implicit-def: $vgpr15
; %bb.1722:                             ;   in Loop: Header=BB12_952 Depth=1
	s_andn2_saveexec_b64 s[58:59], s[58:59]
; %bb.1723:                             ;   in Loop: Header=BB12_952 Depth=1
	v_or_b32_e32 v14, 0x10000, v15
	v_cmp_eq_u32_sdwa vcc, v15, v1 src0_sel:WORD_0 src1_sel:DWORD
	v_cndmask_b32_e32 v14, v14, v15, vcc
; %bb.1724:                             ;   in Loop: Header=BB12_952 Depth=1
	s_or_b64 exec, exec, s[58:59]
	v_add_f32_e32 v12, v12, v11
	v_and_b32_e32 v11, 0x7f800000, v12
	v_cmp_ne_u32_e32 vcc, s37, v11
                                        ; implicit-def: $vgpr11
	s_and_saveexec_b64 s[58:59], vcc
	s_xor_b64 s[58:59], exec, s[58:59]
; %bb.1725:                             ;   in Loop: Header=BB12_952 Depth=1
	v_bfe_u32 v11, v12, 16, 1
	v_add3_u32 v11, v12, v11, s38
                                        ; implicit-def: $vgpr12
; %bb.1726:                             ;   in Loop: Header=BB12_952 Depth=1
	s_andn2_saveexec_b64 s[58:59], s[58:59]
; %bb.1727:                             ;   in Loop: Header=BB12_952 Depth=1
	v_or_b32_e32 v11, 0x10000, v12
	v_cmp_eq_u32_sdwa vcc, v12, v1 src0_sel:WORD_0 src1_sel:DWORD
	v_cndmask_b32_e32 v11, v11, v12, vcc
; %bb.1728:                             ;   in Loop: Header=BB12_952 Depth=1
	s_or_b64 exec, exec, s[58:59]
	v_add_f32_e32 v8, v8, v7
	v_and_b32_e32 v7, 0x7f800000, v8
	v_cmp_ne_u32_e32 vcc, s37, v7
                                        ; implicit-def: $vgpr7
	s_and_saveexec_b64 s[58:59], vcc
	s_xor_b64 s[58:59], exec, s[58:59]
; %bb.1729:                             ;   in Loop: Header=BB12_952 Depth=1
	v_bfe_u32 v7, v8, 16, 1
	v_add3_u32 v7, v8, v7, s38
                                        ; implicit-def: $vgpr8
; %bb.1730:                             ;   in Loop: Header=BB12_952 Depth=1
	s_andn2_saveexec_b64 s[58:59], s[58:59]
; %bb.1731:                             ;   in Loop: Header=BB12_952 Depth=1
	v_or_b32_e32 v7, 0x10000, v8
	v_cmp_eq_u32_sdwa vcc, v8, v1 src0_sel:WORD_0 src1_sel:DWORD
	v_cndmask_b32_e32 v7, v7, v8, vcc
; %bb.1732:                             ;   in Loop: Header=BB12_952 Depth=1
	s_or_b64 exec, exec, s[58:59]
	v_add_f32_e32 v6, v6, v5
	v_and_b32_e32 v5, 0x7f800000, v6
	v_cmp_ne_u32_e32 vcc, s37, v5
                                        ; implicit-def: $vgpr5
	s_and_saveexec_b64 s[58:59], vcc
	s_xor_b64 s[58:59], exec, s[58:59]
; %bb.1733:                             ;   in Loop: Header=BB12_952 Depth=1
	v_bfe_u32 v5, v6, 16, 1
	v_add3_u32 v5, v6, v5, s38
                                        ; implicit-def: $vgpr6
; %bb.1734:                             ;   in Loop: Header=BB12_952 Depth=1
	s_andn2_saveexec_b64 s[58:59], s[58:59]
; %bb.1735:                             ;   in Loop: Header=BB12_952 Depth=1
	v_or_b32_e32 v5, 0x10000, v6
	v_cmp_eq_u32_sdwa vcc, v6, v1 src0_sel:WORD_0 src1_sel:DWORD
	v_cndmask_b32_e32 v5, v5, v6, vcc
; %bb.1736:                             ;   in Loop: Header=BB12_952 Depth=1
	s_or_b64 exec, exec, s[58:59]
	v_add_f32_e32 v4, v4, v0
	v_and_b32_e32 v0, 0x7f800000, v4
	v_cmp_ne_u32_e32 vcc, s37, v0
                                        ; implicit-def: $vgpr0
	s_and_saveexec_b64 s[58:59], vcc
	s_xor_b64 s[58:59], exec, s[58:59]
; %bb.1737:                             ;   in Loop: Header=BB12_952 Depth=1
	v_bfe_u32 v0, v4, 16, 1
	v_add3_u32 v0, v4, v0, s38
                                        ; implicit-def: $vgpr4
; %bb.1738:                             ;   in Loop: Header=BB12_952 Depth=1
	s_andn2_saveexec_b64 s[58:59], s[58:59]
; %bb.1739:                             ;   in Loop: Header=BB12_952 Depth=1
	v_or_b32_e32 v0, 0x10000, v4
	v_cmp_eq_u32_sdwa vcc, v4, v1 src0_sel:WORD_0 src1_sel:DWORD
	v_cndmask_b32_e32 v0, v0, v4, vcc
; %bb.1740:                             ;   in Loop: Header=BB12_952 Depth=1
	s_or_b64 exec, exec, s[58:59]
	flat_store_short_d16_hi v[2:3], v9 glc slc
	flat_store_short_d16_hi v[2:3], v13 offset:128 glc slc
	flat_store_short_d16_hi v[2:3], v16 offset:256 glc slc
	;; [unrolled: 1-line block ×15, first 2 shown]
.LBB12_1741:                            ;   in Loop: Header=BB12_952 Depth=1
	s_or_b64 exec, exec, s[18:19]
	buffer_load_dword v0, off, s[0:3], s33 offset:380 ; 4-byte Folded Reload
	buffer_load_dword v5, off, s[0:3], s33 offset:492 ; 4-byte Folded Reload
	;; [unrolled: 1-line block ×13, first 2 shown]
	s_waitcnt vmcnt(0)
	v_lshlrev_b32_e32 v0, 11, v0
	v_cmp_ne_u32_e32 vcc, v5, v0
	s_and_b64 s[18:19], exec, vcc
	s_mov_b64 exec, s[18:19]
	s_cbranch_execz .LBB12_1766
; %bb.1742:                             ;   in Loop: Header=BB12_952 Depth=1
	v_lshlrev_b32_e32 v2, 6, v10
	v_sub_u32_e32 v2, v3, v2
	v_ashrrev_i32_e32 v3, 31, v2
	v_lshrrev_b32_e32 v3, 26, v3
	v_add_u32_e32 v3, v2, v3
	v_and_b32_e32 v4, 0x7fffffc0, v3
	v_sub_u32_e32 v2, v2, v4
	v_lshlrev_b32_e32 v3, 1, v3
	v_and_b32_e32 v3, 0xffffff80, v3
	v_lshlrev_b32_e32 v2, 1, v2
	v_add3_u32 v2, v3, v2, v0
	v_sub_u32_e32 v0, v5, v2
	v_cmp_lt_i32_e32 vcc, 1, v0
	s_and_b64 exec, exec, vcc
	s_cbranch_execz .LBB12_1766
; %bb.1743:                             ;   in Loop: Header=BB12_952 Depth=1
	s_trap 2
	ds_read_b64 v[8:9], v0
	v_add_u32_e32 v4, v2, v6
	buffer_load_dword v5, off, s[0:3], s33 offset:428 ; 4-byte Folded Reload
	buffer_load_dword v6, off, s[0:3], s33 offset:432 ; 4-byte Folded Reload
	v_ashrrev_i32_e32 v10, 31, v4
	v_add_co_u32_e32 v2, vcc, v31, v4
	v_addc_co_u32_e32 v3, vcc, v32, v10, vcc
	s_mov_b64 s[62:63], 0
	s_mov_b64 s[58:59], 0
                                        ; implicit-def: $sgpr60_sgpr61
	s_waitcnt vmcnt(0)
	v_add_co_u32_e32 v7, vcc, v4, v5
	v_addc_co_u32_e32 v6, vcc, v10, v6, vcc
	s_waitcnt lgkmcnt(0)
	v_add_co_u32_e32 v5, vcc, v8, v4
	v_addc_co_u32_e32 v4, vcc, v9, v10, vcc
	s_branch .LBB12_1745
.LBB12_1744:                            ;   in Loop: Header=BB12_1745 Depth=2
	s_or_b64 exec, exec, s[18:19]
	v_lshrrev_b32_e32 v8, 16, v9
	buffer_store_short v8, off, s[0:3], s33 offset:64
	flat_store_short v[2:3], v8 glc slc
	v_add_co_u32_e32 v8, vcc, v7, v14
	v_addc_co_u32_e32 v9, vcc, v6, v15, vcc
	v_add_co_u32_e32 v10, vcc, v5, v14
	v_mov_b32_e32 v13, 0x80
	v_addc_co_u32_e32 v11, vcc, v4, v15, vcc
	v_cndmask_b32_e64 v13, v13, v16, s[62:63]
	v_cndmask_b32_e64 v12, 0, v17, s[62:63]
	v_add_co_u32_e32 v2, vcc, v2, v13
	v_cndmask_b32_e64 v7, v7, v8, s[62:63]
	v_cndmask_b32_e64 v8, 0, v61, s[62:63]
	v_addc_co_u32_e32 v3, vcc, v3, v12, vcc
	v_sub_u32_e32 v0, v0, v8
	v_cmp_gt_i32_e32 vcc, 2, v0
	s_or_b64 s[58:59], vcc, s[58:59]
	s_andn2_b64 s[18:19], s[60:61], exec
	s_and_b64 s[60:61], s[62:63], exec
	v_cndmask_b32_e64 v4, v4, v11, s[62:63]
	v_cndmask_b32_e64 v5, v5, v10, s[62:63]
	;; [unrolled: 1-line block ×3, first 2 shown]
	s_or_b64 s[60:61], s[18:19], s[60:61]
	s_andn2_b64 exec, exec, s[58:59]
	s_cbranch_execz .LBB12_1760
.LBB12_1745:                            ;   Parent Loop BB12_952 Depth=1
                                        ; =>  This Loop Header: Depth=2
                                        ;       Child Loop BB12_1746 Depth 3
                                        ;       Child Loop BB12_1755 Depth 3
	s_lshr_b32 s76, s33, 6
	s_add_i32 s76, s76, 64
	s_mov_b64 s[72:73], -1
	s_mov_b64 s[74:75], 0
.LBB12_1746:                            ;   Parent Loop BB12_952 Depth=1
                                        ;     Parent Loop BB12_1745 Depth=2
                                        ; =>    This Inner Loop Header: Depth=3
	s_cmp_eq_u32 s74, 1
	s_cselect_b64 s[18:19], -1, 0
	v_cndmask_b32_e64 v9, v6, v4, s[18:19]
	v_cndmask_b32_e64 v8, v7, v5, s[18:19]
	flat_load_ushort v10, v[8:9] glc slc
	v_add_co_u32_e32 v8, vcc, 0x80, v8
	v_addc_co_u32_e32 v9, vcc, 0, v9, vcc
	s_cmp_eq_u32 s74, 0
	v_mov_b32_e32 v11, s76
	s_cselect_b64 vcc, -1, 0
	s_lshr_b32 s76, s33, 6
	s_addk_i32 s76, 0x60
	v_cndmask_b32_e64 v4, v4, v9, s[18:19]
	v_cndmask_b32_e64 v5, v5, v8, s[18:19]
	v_cndmask_b32_e32 v6, v6, v9, vcc
	v_cndmask_b32_e32 v7, v7, v8, vcc
	s_mov_b64 s[74:75], 1
	s_and_b64 vcc, exec, s[72:73]
	s_mov_b64 s[72:73], 0
	s_waitcnt vmcnt(0) lgkmcnt(0)
	buffer_store_short v10, v11, s[0:3], 0 offen
	s_cbranch_vccnz .LBB12_1746
; %bb.1747:                             ;   in Loop: Header=BB12_1745 Depth=2
	s_and_saveexec_b64 s[18:19], s[62:63]
	s_cbranch_execz .LBB12_1753
; %bb.1748:                             ;   in Loop: Header=BB12_1745 Depth=2
	buffer_load_ushort v8, off, s[0:3], s33 offset:62
	buffer_load_ushort v9, off, s[0:3], s33 offset:60
	s_waitcnt vmcnt(1)
	v_lshlrev_b32_e32 v8, 16, v8
	s_waitcnt vmcnt(0)
	v_lshlrev_b32_e32 v9, 16, v9
	v_add_f32_e32 v8, v9, v8
	v_and_b32_e32 v9, 0x7f800000, v8
	v_cmp_ne_u32_e32 vcc, s37, v9
                                        ; implicit-def: $vgpr9
	s_and_saveexec_b64 s[62:63], vcc
	s_xor_b64 s[62:63], exec, s[62:63]
; %bb.1749:                             ;   in Loop: Header=BB12_1745 Depth=2
	v_bfe_u32 v9, v8, 16, 1
	v_add3_u32 v9, v8, v9, s38
                                        ; implicit-def: $vgpr8
; %bb.1750:                             ;   in Loop: Header=BB12_1745 Depth=2
	s_andn2_saveexec_b64 s[62:63], s[62:63]
; %bb.1751:                             ;   in Loop: Header=BB12_1745 Depth=2
	v_or_b32_e32 v9, 0x10000, v8
	v_cmp_eq_u32_sdwa vcc, v8, v1 src0_sel:WORD_0 src1_sel:DWORD
	v_cndmask_b32_e32 v9, v9, v8, vcc
; %bb.1752:                             ;   in Loop: Header=BB12_1745 Depth=2
	s_or_b64 exec, exec, s[62:63]
	v_lshrrev_b32_e32 v8, 16, v9
	flat_store_short v[2:3], v8 glc slc
	v_add_co_u32_e32 v2, vcc, v2, v16
	v_addc_co_u32_e32 v3, vcc, v3, v17, vcc
	buffer_store_short v8, off, s[0:3], s33 offset:60
.LBB12_1753:                            ;   in Loop: Header=BB12_1745 Depth=2
	s_or_b64 exec, exec, s[18:19]
	v_add_co_u32_e32 v7, vcc, v7, v14
	v_addc_co_u32_e32 v6, vcc, v6, v15, vcc
	v_add_co_u32_e32 v5, vcc, v5, v14
	v_sub_u32_e32 v0, v0, v61
	v_addc_co_u32_e32 v4, vcc, v4, v15, vcc
	v_cmp_lt_i32_e64 s[62:63], 1, v0
	s_and_saveexec_b64 s[72:73], s[62:63]
	s_cbranch_execz .LBB12_1756
; %bb.1754:                             ;   in Loop: Header=BB12_1745 Depth=2
	s_lshr_b32 s78, s33, 6
	s_add_i32 s78, s78, 60
	s_mov_b64 s[76:77], 0
	s_mov_b64 s[74:75], -1
.LBB12_1755:                            ;   Parent Loop BB12_952 Depth=1
                                        ;     Parent Loop BB12_1745 Depth=2
                                        ; =>    This Inner Loop Header: Depth=3
	s_cmp_eq_u32 s76, 1
	s_cselect_b64 s[18:19], -1, 0
	v_cndmask_b32_e64 v9, v6, v4, s[18:19]
	v_cndmask_b32_e64 v8, v7, v5, s[18:19]
	flat_load_ushort v10, v[8:9] glc slc
	v_add_co_u32_e32 v8, vcc, 0x80, v8
	v_addc_co_u32_e32 v9, vcc, 0, v9, vcc
	s_cmp_eq_u32 s76, 0
	v_mov_b32_e32 v11, s78
	s_cselect_b64 vcc, -1, 0
	s_lshr_b32 s78, s33, 6
	s_add_i32 s78, s78, 62
	v_cndmask_b32_e32 v6, v6, v9, vcc
	v_cndmask_b32_e32 v7, v7, v8, vcc
	v_cndmask_b32_e64 v4, v4, v9, s[18:19]
	v_cndmask_b32_e64 v5, v5, v8, s[18:19]
	s_mov_b64 s[76:77], 1
	s_and_b64 vcc, exec, s[74:75]
	s_mov_b64 s[74:75], 0
	s_waitcnt vmcnt(0) lgkmcnt(0)
	buffer_store_short v10, v11, s[0:3], 0 offen
	s_cbranch_vccnz .LBB12_1755
.LBB12_1756:                            ;   in Loop: Header=BB12_1745 Depth=2
	s_or_b64 exec, exec, s[72:73]
	buffer_load_ushort v8, off, s[0:3], s33 offset:96
	buffer_load_ushort v9, off, s[0:3], s33 offset:64
	s_waitcnt vmcnt(0)
	v_lshlrev_b32_e32 v8, 16, v8
	v_lshlrev_b32_e32 v9, 16, v9
	v_add_f32_e32 v8, v9, v8
	v_and_b32_e32 v9, 0x7f800000, v8
	v_cmp_ne_u32_e32 vcc, s37, v9
                                        ; implicit-def: $vgpr9
	s_and_saveexec_b64 s[18:19], vcc
	s_xor_b64 s[18:19], exec, s[18:19]
; %bb.1757:                             ;   in Loop: Header=BB12_1745 Depth=2
	v_bfe_u32 v9, v8, 16, 1
	v_add3_u32 v9, v8, v9, s38
                                        ; implicit-def: $vgpr8
; %bb.1758:                             ;   in Loop: Header=BB12_1745 Depth=2
	s_andn2_saveexec_b64 s[18:19], s[18:19]
	s_cbranch_execz .LBB12_1744
; %bb.1759:                             ;   in Loop: Header=BB12_1745 Depth=2
	v_or_b32_e32 v9, 0x10000, v8
	v_cmp_eq_u32_sdwa vcc, v8, v1 src0_sel:WORD_0 src1_sel:DWORD
	v_cndmask_b32_e32 v9, v9, v8, vcc
	s_branch .LBB12_1744
.LBB12_1760:                            ;   in Loop: Header=BB12_952 Depth=1
	s_or_b64 exec, exec, s[58:59]
	s_and_b64 exec, exec, s[60:61]
	s_cbranch_execz .LBB12_1766
; %bb.1761:                             ;   in Loop: Header=BB12_952 Depth=1
	buffer_load_ushort v0, off, s[0:3], s33 offset:62
	buffer_load_ushort v4, off, s[0:3], s33 offset:60
	s_waitcnt vmcnt(0)
	v_lshlrev_b32_e32 v0, 16, v0
	v_lshlrev_b32_e32 v4, 16, v4
	v_add_f32_e32 v0, v4, v0
	v_and_b32_e32 v4, 0x7f800000, v0
	v_cmp_ne_u32_e32 vcc, s37, v4
                                        ; implicit-def: $vgpr4
	s_and_saveexec_b64 s[18:19], vcc
	s_xor_b64 s[18:19], exec, s[18:19]
; %bb.1762:                             ;   in Loop: Header=BB12_952 Depth=1
	v_bfe_u32 v4, v0, 16, 1
	v_add3_u32 v4, v0, v4, s38
                                        ; implicit-def: $vgpr0
; %bb.1763:                             ;   in Loop: Header=BB12_952 Depth=1
	s_andn2_saveexec_b64 s[18:19], s[18:19]
; %bb.1764:                             ;   in Loop: Header=BB12_952 Depth=1
	v_or_b32_e32 v4, 0x10000, v0
	v_cmp_eq_u32_sdwa vcc, v0, v1 src0_sel:WORD_0 src1_sel:DWORD
	v_cndmask_b32_e32 v4, v4, v0, vcc
; %bb.1765:                             ;   in Loop: Header=BB12_952 Depth=1
	s_or_b64 exec, exec, s[18:19]
	flat_store_short_d16_hi v[2:3], v4 glc slc
.LBB12_1766:                            ;   in Loop: Header=BB12_952 Depth=1
	s_or_b64 exec, exec, s[20:21]
	s_waitcnt vmcnt(0)
	v_cmp_ne_u32_e64 s[18:19], 0, v28
	s_and_saveexec_b64 s[20:21], s[10:11]
	s_cbranch_execz .LBB12_1785
.LBB12_1767:                            ;   in Loop: Header=BB12_952 Depth=1
	s_and_saveexec_b64 s[58:59], s[40:41]
	s_xor_b64 s[58:59], exec, s[58:59]
	s_cbranch_execz .LBB12_1782
; %bb.1768:                             ;   in Loop: Header=BB12_952 Depth=1
	s_and_saveexec_b64 s[60:61], s[12:13]
	s_cbranch_execz .LBB12_1781
; %bb.1769:                             ;   in Loop: Header=BB12_952 Depth=1
	s_mov_b64 s[72:73], exec
	v_mbcnt_lo_u32_b32 v0, s72, 0
	v_mbcnt_hi_u32_b32 v0, s73, v0
	v_cmp_eq_u32_e32 vcc, 0, v0
	s_waitcnt vmcnt(0) lgkmcnt(0)
	buffer_wbinvl1_vol
	s_and_saveexec_b64 s[62:63], vcc
	s_cbranch_execz .LBB12_1771
; %bb.1770:                             ;   in Loop: Header=BB12_952 Depth=1
	s_bcnt1_i32_b64 s72, s[72:73]
	v_mov_b32_e32 v0, s72
	ds_add_u64 v0, v[0:1]
	s_trap 2
.LBB12_1771:                            ;   in Loop: Header=BB12_952 Depth=1
	s_or_b64 exec, exec, s[62:63]
	s_trap 2
	ds_read_b64 v[2:3], v0
	s_waitcnt lgkmcnt(0)
	buffer_load_dword v4, off, s[0:3], s33 offset:160 ; 4-byte Folded Reload
	buffer_load_dword v5, off, s[0:3], s33 offset:164 ; 4-byte Folded Reload
	;; [unrolled: 1-line block ×3, first 2 shown]
	s_waitcnt vmcnt(0)
	v_add_co_u32_e32 v4, vcc, v4, v0
	v_addc_co_u32_e32 v5, vcc, 0, v5, vcc
	buffer_store_dword v4, off, s[0:3], s33 offset:160 ; 4-byte Folded Spill
	s_nop 0
	buffer_store_dword v5, off, s[0:3], s33 offset:164 ; 4-byte Folded Spill
	v_cmp_lt_u64_e32 vcc, v[2:3], v[4:5]
	s_and_saveexec_b64 s[62:63], vcc
	s_cbranch_execz .LBB12_1780
; %bb.1772:                             ;   in Loop: Header=BB12_952 Depth=1
	s_mov_b32 s92, 0
	s_mov_b64 s[72:73], 0
                                        ; implicit-def: $sgpr74_sgpr75
                                        ; implicit-def: $sgpr76_sgpr77
	s_branch .LBB12_1774
.LBB12_1773:                            ;   in Loop: Header=BB12_1774 Depth=2
	s_or_b64 exec, exec, s[88:89]
	s_and_b64 s[78:79], exec, s[90:91]
	s_or_b64 s[72:73], s[78:79], s[72:73]
	s_andn2_b64 s[74:75], s[74:75], exec
	s_and_b64 s[78:79], s[76:77], exec
	s_or_b64 s[74:75], s[74:75], s[78:79]
	s_andn2_b64 exec, exec, s[72:73]
	s_cbranch_execz .LBB12_1778
.LBB12_1774:                            ;   Parent Loop BB12_952 Depth=1
                                        ; =>  This Inner Loop Header: Depth=2
	s_add_i32 s92, s92, 1
	s_cmpk_lg_i32 s92, 0x2710
	s_cselect_b64 s[78:79], -1, 0
	s_and_b64 vcc, exec, s[78:79]
	s_cbranch_vccz .LBB12_1776
; %bb.1775:                             ;   in Loop: Header=BB12_1774 Depth=2
	s_mov_b64 s[90:91], -1
	s_or_b64 s[76:77], s[76:77], exec
	s_and_saveexec_b64 s[88:89], s[78:79]
	s_cbranch_execz .LBB12_1773
	s_branch .LBB12_1777
.LBB12_1776:                            ;   in Loop: Header=BB12_1774 Depth=2
	s_trap 2
	ds_read_b64 v[2:3], v0
	s_andn2_b64 s[78:79], s[78:79], exec
	s_mov_b32 s92, 0
	s_waitcnt vmcnt(0) lgkmcnt(0)
	flat_load_dword v0, v[2:3] glc
	s_waitcnt vmcnt(0) lgkmcnt(0)
	buffer_wbinvl1_vol
	v_cmp_eq_u32_e32 vcc, 0, v0
	s_and_b64 s[88:89], vcc, exec
	s_or_b64 s[78:79], s[78:79], s[88:89]
	s_mov_b64 s[90:91], -1
	s_or_b64 s[76:77], s[76:77], exec
	s_and_saveexec_b64 s[88:89], s[78:79]
	s_cbranch_execz .LBB12_1773
.LBB12_1777:                            ;   in Loop: Header=BB12_1774 Depth=2
	s_sleep 1
	s_trap 2
	ds_read_b64 v[2:3], v0
	s_waitcnt lgkmcnt(0)
	buffer_load_dword v4, off, s[0:3], s33 offset:160 ; 4-byte Folded Reload
	buffer_load_dword v5, off, s[0:3], s33 offset:164 ; 4-byte Folded Reload
	s_andn2_b64 s[76:77], s[76:77], exec
	s_waitcnt vmcnt(0)
	v_cmp_ge_u64_e32 vcc, v[2:3], v[4:5]
	s_orn2_b64 s[90:91], vcc, exec
	s_branch .LBB12_1773
.LBB12_1778:                            ;   in Loop: Header=BB12_952 Depth=1
	s_or_b64 exec, exec, s[72:73]
	s_and_saveexec_b64 s[72:73], s[74:75]
	s_xor_b64 s[72:73], exec, s[72:73]
	s_cbranch_execz .LBB12_1780
; %bb.1779:                             ;   in Loop: Header=BB12_952 Depth=1
	v_mov_b32_e32 v0, 1
	ds_write_b32 v0, v0
	s_trap 2
.LBB12_1780:                            ;   in Loop: Header=BB12_952 Depth=1
	s_or_b64 exec, exec, s[62:63]
	;;#ASMSTART
	s_wakeup
	;;#ASMEND
.LBB12_1781:                            ;   in Loop: Header=BB12_952 Depth=1
	s_or_b64 exec, exec, s[60:61]
.LBB12_1782:                            ;   in Loop: Header=BB12_952 Depth=1
	s_andn2_saveexec_b64 s[58:59], s[58:59]
	s_cbranch_execz .LBB12_1784
; %bb.1783:                             ;   in Loop: Header=BB12_952 Depth=1
	s_waitcnt vmcnt(0) lgkmcnt(0)
	buffer_wbinvl1_vol
	s_barrier
.LBB12_1784:                            ;   in Loop: Header=BB12_952 Depth=1
	s_or_b64 exec, exec, s[58:59]
.LBB12_1785:                            ;   in Loop: Header=BB12_952 Depth=1
	s_or_b64 exec, exec, s[20:21]
	v_and_b32_e32 v0, 16, v53
	v_cmp_ne_u32_e32 vcc, 0, v0
	s_and_b64 s[20:21], vcc, s[18:19]
	s_and_saveexec_b64 s[18:19], s[20:21]
	s_cbranch_execz .LBB12_1787
; %bb.1786:                             ;   in Loop: Header=BB12_952 Depth=1
	s_waitcnt vmcnt(0) lgkmcnt(0)
	buffer_wbinvl1_vol
.LBB12_1787:                            ;   in Loop: Header=BB12_952 Depth=1
	s_or_b64 exec, exec, s[18:19]
	v_and_b32_e32 v0, 32, v53
	v_cmp_ne_u32_e32 vcc, 0, v0
	s_and_saveexec_b64 s[18:19], vcc
	s_cbranch_execz .LBB12_1789
; %bb.1788:                             ;   in Loop: Header=BB12_952 Depth=1
	buffer_load_dword v2, off, s[0:3], s33 offset:144 ; 4-byte Folded Reload
	buffer_load_dword v3, off, s[0:3], s33 offset:148 ; 4-byte Folded Reload
	;; [unrolled: 1-line block ×4, first 2 shown]
	s_waitcnt vmcnt(0)
	v_add_co_u32_e32 v4, vcc, 1, v4
	v_addc_co_u32_e32 v5, vcc, 0, v5, vcc
	buffer_store_dword v2, off, s[0:3], s33 offset:144 ; 4-byte Folded Spill
	s_nop 0
	buffer_store_dword v3, off, s[0:3], s33 offset:148 ; 4-byte Folded Spill
	buffer_store_dword v4, off, s[0:3], s33 offset:152 ; 4-byte Folded Spill
	buffer_store_dword v5, off, s[0:3], s33 offset:156 ; 4-byte Folded Spill
	buffer_load_dword v2, off, s[0:3], s33 offset:136 ; 4-byte Folded Reload
	s_nop 0
	buffer_load_dword v3, off, s[0:3], s33 offset:140 ; 4-byte Folded Reload
	s_waitcnt vmcnt(0)
	flat_store_dwordx2 v[2:3], v[4:5]
.LBB12_1789:                            ;   in Loop: Header=BB12_952 Depth=1
	s_or_b64 exec, exec, s[18:19]
	v_mov_b32_e32 v8, v52
.LBB12_1790:                            ;   in Loop: Header=BB12_952 Depth=1
	s_or_b64 exec, exec, s[56:57]
	s_and_saveexec_b64 s[20:21], s[46:47]
	s_cbranch_execz .LBB12_951
; %bb.1791:                             ;   in Loop: Header=BB12_952 Depth=1
	v_and_b32_e32 v0, 4, v53
	v_cmp_ne_u32_e32 vcc, 0, v0
	s_and_saveexec_b64 s[46:47], vcc
	s_cbranch_execz .LBB12_1813
; %bb.1792:                             ;   in Loop: Header=BB12_952 Depth=1
	buffer_load_dword v2, off, s[0:3], s33 offset:144 ; 4-byte Folded Reload
	buffer_load_dword v3, off, s[0:3], s33 offset:148 ; 4-byte Folded Reload
	;; [unrolled: 1-line block ×4, first 2 shown]
	s_waitcnt vmcnt(0)
	v_add_co_u32_e32 v2, vcc, 1, v4
	v_addc_co_u32_e32 v3, vcc, 0, v5, vcc
	buffer_load_dword v4, off, s[0:3], s33 offset:128 ; 4-byte Folded Reload
	buffer_load_dword v5, off, s[0:3], s33 offset:132 ; 4-byte Folded Reload
	s_waitcnt vmcnt(0)
	v_cmp_lt_u64_e32 vcc, v[4:5], v[2:3]
	s_and_saveexec_b64 s[56:57], vcc
	s_cbranch_execz .LBB12_1804
; %bb.1793:                             ;   in Loop: Header=BB12_952 Depth=1
	v_and_b32_e32 v0, 64, v53
	s_mov_b32 s92, 0
	v_cmp_eq_u32_e32 vcc, 0, v0
	s_mov_b64 s[58:59], 0
                                        ; implicit-def: $sgpr60_sgpr61
                                        ; implicit-def: $sgpr62_sgpr63
                                        ; implicit-def: $sgpr72_sgpr73
	s_branch .LBB12_1797
.LBB12_1794:                            ;   in Loop: Header=BB12_1797 Depth=2
	buffer_load_dword v4, off, s[0:3], s33 offset:128 ; 4-byte Folded Reload
	buffer_load_dword v5, off, s[0:3], s33 offset:132 ; 4-byte Folded Reload
	s_or_b64 s[78:79], s[78:79], exec
	s_waitcnt vmcnt(0)
	v_cmp_ge_u64_e64 s[18:19], v[4:5], v[2:3]
	s_orn2_b64 s[76:77], s[18:19], exec
.LBB12_1795:                            ;   in Loop: Header=BB12_1797 Depth=2
	s_or_b64 exec, exec, s[90:91]
	s_andn2_b64 s[18:19], s[72:73], exec
	s_and_b64 s[72:73], s[78:79], exec
	s_or_b64 s[72:73], s[18:19], s[72:73]
	s_andn2_b64 s[18:19], s[62:63], exec
	s_and_b64 s[62:63], s[76:77], exec
	s_or_b64 s[62:63], s[18:19], s[62:63]
.LBB12_1796:                            ;   in Loop: Header=BB12_1797 Depth=2
	s_or_b64 exec, exec, s[74:75]
	s_and_b64 s[18:19], exec, s[62:63]
	s_or_b64 s[58:59], s[18:19], s[58:59]
	s_andn2_b64 s[18:19], s[60:61], exec
	s_and_b64 s[60:61], s[72:73], exec
	s_or_b64 s[60:61], s[18:19], s[60:61]
	s_andn2_b64 exec, exec, s[58:59]
	s_cbranch_execz .LBB12_1801
.LBB12_1797:                            ;   Parent Loop BB12_952 Depth=1
                                        ; =>  This Inner Loop Header: Depth=2
	s_sleep 1
	buffer_load_dword v4, off, s[0:3], s33 offset:136 ; 4-byte Folded Reload
	buffer_load_dword v5, off, s[0:3], s33 offset:140 ; 4-byte Folded Reload
	s_or_b64 s[72:73], s[72:73], exec
	s_or_b64 s[62:63], s[62:63], exec
                                        ; implicit-def: $vgpr0
	s_waitcnt vmcnt(0)
	flat_load_dwordx2 v[4:5], v[4:5] glc
	s_waitcnt vmcnt(0) lgkmcnt(0)
	buffer_store_dword v4, off, s[0:3], s33 offset:128 ; 4-byte Folded Spill
	s_nop 0
	buffer_store_dword v5, off, s[0:3], s33 offset:132 ; 4-byte Folded Spill
	s_and_saveexec_b64 s[74:75], vcc
	s_cbranch_execz .LBB12_1796
; %bb.1798:                             ;   in Loop: Header=BB12_1797 Depth=2
	s_cmpk_lt_i32 s92, 0x270f
	s_cselect_b64 s[88:89], -1, 0
	s_cmpk_gt_i32 s92, 0x270e
	s_mov_b64 s[76:77], -1
	s_cbranch_scc0 .LBB12_1800
; %bb.1799:                             ;   in Loop: Header=BB12_1797 Depth=2
	s_trap 2
	ds_read_b64 v[4:5], v0
	s_andn2_b64 s[88:89], s[88:89], exec
	s_mov_b32 s92, 0
	s_mov_b64 s[78:79], 0
	s_waitcnt vmcnt(0) lgkmcnt(0)
	flat_load_dword v0, v[4:5] glc
	s_waitcnt vmcnt(0) lgkmcnt(0)
	buffer_wbinvl1_vol
	v_cmp_eq_u32_e64 s[18:19], 0, v0
	s_and_b64 s[18:19], s[18:19], exec
	s_or_b64 s[88:89], s[88:89], s[18:19]
	s_and_saveexec_b64 s[90:91], s[88:89]
	s_cbranch_execz .LBB12_1795
	s_branch .LBB12_1794
.LBB12_1800:                            ;   in Loop: Header=BB12_1797 Depth=2
	s_add_i32 s92, s92, 1
	s_mov_b64 s[78:79], -1
                                        ; implicit-def: $vgpr0
	s_and_saveexec_b64 s[90:91], s[88:89]
	s_cbranch_execz .LBB12_1795
	s_branch .LBB12_1794
.LBB12_1801:                            ;   in Loop: Header=BB12_952 Depth=1
	s_or_b64 exec, exec, s[58:59]
	s_xor_b64 s[18:19], s[60:61], -1
	s_and_saveexec_b64 s[58:59], s[18:19]
	s_xor_b64 s[18:19], exec, s[58:59]
	s_cbranch_execz .LBB12_1803
; %bb.1802:                             ;   in Loop: Header=BB12_952 Depth=1
	v_or_b32_e32 v53, 64, v53
	ds_write_b32 v0, v0
	s_trap 2
.LBB12_1803:                            ;   in Loop: Header=BB12_952 Depth=1
	s_or_b64 exec, exec, s[18:19]
.LBB12_1804:                            ;   in Loop: Header=BB12_952 Depth=1
	s_or_b64 exec, exec, s[56:57]
	;;#ASMSTART
	s_wakeup
	;;#ASMEND
	buffer_load_dword v4, off, s[0:3], s33 offset:144 ; 4-byte Folded Reload
	buffer_load_dword v5, off, s[0:3], s33 offset:148 ; 4-byte Folded Reload
	;; [unrolled: 1-line block ×4, first 2 shown]
	v_and_b32_e32 v0, 0x100, v53
	v_cmp_ne_u32_e32 vcc, 0, v0
	s_mov_b64 s[18:19], -1
                                        ; implicit-def: $vgpr4_vgpr5
	s_waitcnt vmcnt(0)
	v_and_b32_e32 v0, 7, v6
	s_and_saveexec_b64 s[56:57], vcc
	s_cbranch_execz .LBB12_1808
; %bb.1805:                             ;   in Loop: Header=BB12_952 Depth=1
	buffer_load_dword v4, off, s[0:3], s33 offset:144 ; 4-byte Folded Reload
	buffer_load_dword v5, off, s[0:3], s33 offset:148 ; 4-byte Folded Reload
	;; [unrolled: 1-line block ×4, first 2 shown]
	s_waitcnt vmcnt(0)
	v_mad_u64_u32 v[6:7], s[18:19], v0, 24, v[4:5]
	flat_load_dword v4, v[6:7]
	s_waitcnt vmcnt(0) lgkmcnt(0)
	v_cmp_ne_u32_e32 vcc, 1, v4
	v_cmp_eq_u32_e64 s[18:19], 1, v4
                                        ; implicit-def: $vgpr4_vgpr5
	s_and_saveexec_b64 s[58:59], s[18:19]
	s_cbranch_execz .LBB12_1807
; %bb.1806:                             ;   in Loop: Header=BB12_952 Depth=1
	flat_load_dword v4, v[6:7] offset:4 glc
	s_waitcnt vmcnt(0) lgkmcnt(0)
	v_ashrrev_i32_e32 v5, 31, v4
	v_lshrrev_b64 v[4:5], 1, v[4:5]
.LBB12_1807:                            ;   in Loop: Header=BB12_952 Depth=1
	s_or_b64 exec, exec, s[58:59]
	s_orn2_b64 s[18:19], vcc, exec
.LBB12_1808:                            ;   in Loop: Header=BB12_952 Depth=1
	s_or_b64 exec, exec, s[56:57]
	s_and_saveexec_b64 s[56:57], s[18:19]
	s_cbranch_execz .LBB12_1810
; %bb.1809:                             ;   in Loop: Header=BB12_952 Depth=1
	buffer_load_dword v4, off, s[0:3], s33 offset:412 ; 4-byte Folded Reload
	s_waitcnt vmcnt(0)
	v_mad_i64_i32 v[4:5], s[18:19], v0, v4, 0
.LBB12_1810:                            ;   in Loop: Header=BB12_952 Depth=1
	s_or_b64 exec, exec, s[56:57]
	buffer_load_dword v6, off, s[0:3], s33 offset:320 ; 4-byte Folded Reload
	buffer_load_dword v7, off, s[0:3], s33 offset:324 ; 4-byte Folded Reload
	v_lshlrev_b64 v[4:5], 1, v[4:5]
	s_waitcnt vmcnt(0)
	v_add_co_u32_e32 v4, vcc, v6, v4
	v_addc_co_u32_e32 v5, vcc, v7, v5, vcc
	ds_write_b64 v0, v[4:5] offset:728
	v_and_b32_e32 v0, 0x2000, v53
	v_cmp_ne_u32_e32 vcc, 0, v0
	s_and_saveexec_b64 s[18:19], vcc
	s_cbranch_execz .LBB12_1812
; %bb.1811:                             ;   in Loop: Header=BB12_952 Depth=1
	ds_read_b64 v[4:5], v0 offset:872
	s_waitcnt lgkmcnt(0)
	v_add_co_u32_e32 v4, vcc, 1, v4
	v_addc_co_u32_e32 v5, vcc, 0, v5, vcc
	ds_write_b64 v0, v[4:5] offset:872
.LBB12_1812:                            ;   in Loop: Header=BB12_952 Depth=1
	s_or_b64 exec, exec, s[18:19]
	buffer_load_dword v4, off, s[0:3], s33 offset:144 ; 4-byte Folded Reload
	buffer_load_dword v5, off, s[0:3], s33 offset:148 ; 4-byte Folded Reload
	;; [unrolled: 1-line block ×4, first 2 shown]
	s_waitcnt vmcnt(0)
	v_mov_b32_e32 v7, v3
	v_mov_b32_e32 v6, v2
	buffer_store_dword v4, off, s[0:3], s33 offset:144 ; 4-byte Folded Spill
	s_nop 0
	buffer_store_dword v5, off, s[0:3], s33 offset:148 ; 4-byte Folded Spill
	buffer_store_dword v6, off, s[0:3], s33 offset:152 ; 4-byte Folded Spill
	;; [unrolled: 1-line block ×3, first 2 shown]
.LBB12_1813:                            ;   in Loop: Header=BB12_952 Depth=1
	s_or_b64 exec, exec, s[46:47]
	s_and_saveexec_b64 s[18:19], s[10:11]
	s_cbranch_execz .LBB12_1832
; %bb.1814:                             ;   in Loop: Header=BB12_952 Depth=1
	s_and_saveexec_b64 s[46:47], s[40:41]
	s_xor_b64 s[46:47], exec, s[46:47]
	s_cbranch_execz .LBB12_1829
; %bb.1815:                             ;   in Loop: Header=BB12_952 Depth=1
	s_and_saveexec_b64 s[56:57], s[12:13]
	s_cbranch_execz .LBB12_1828
; %bb.1816:                             ;   in Loop: Header=BB12_952 Depth=1
	s_mov_b64 s[60:61], exec
	v_mbcnt_lo_u32_b32 v0, s60, 0
	v_mbcnt_hi_u32_b32 v0, s61, v0
	v_cmp_eq_u32_e32 vcc, 0, v0
	s_waitcnt vmcnt(0) lgkmcnt(0)
	buffer_wbinvl1_vol
	s_and_saveexec_b64 s[58:59], vcc
	s_cbranch_execz .LBB12_1818
; %bb.1817:                             ;   in Loop: Header=BB12_952 Depth=1
	s_bcnt1_i32_b64 s60, s[60:61]
	v_mov_b32_e32 v0, s60
	ds_add_u64 v0, v[0:1]
	s_trap 2
.LBB12_1818:                            ;   in Loop: Header=BB12_952 Depth=1
	s_or_b64 exec, exec, s[58:59]
	s_trap 2
	ds_read_b64 v[2:3], v0
	s_waitcnt lgkmcnt(0)
	buffer_load_dword v4, off, s[0:3], s33 offset:160 ; 4-byte Folded Reload
	buffer_load_dword v5, off, s[0:3], s33 offset:164 ; 4-byte Folded Reload
	;; [unrolled: 1-line block ×3, first 2 shown]
	s_waitcnt vmcnt(0)
	v_add_co_u32_e32 v4, vcc, v4, v0
	v_addc_co_u32_e32 v5, vcc, 0, v5, vcc
	buffer_store_dword v4, off, s[0:3], s33 offset:160 ; 4-byte Folded Spill
	s_nop 0
	buffer_store_dword v5, off, s[0:3], s33 offset:164 ; 4-byte Folded Spill
	v_cmp_lt_u64_e32 vcc, v[2:3], v[4:5]
	s_and_saveexec_b64 s[58:59], vcc
	s_cbranch_execz .LBB12_1827
; %bb.1819:                             ;   in Loop: Header=BB12_952 Depth=1
	s_mov_b32 s88, 0
	s_mov_b64 s[60:61], 0
                                        ; implicit-def: $sgpr62_sgpr63
                                        ; implicit-def: $sgpr72_sgpr73
	s_branch .LBB12_1821
.LBB12_1820:                            ;   in Loop: Header=BB12_1821 Depth=2
	s_or_b64 exec, exec, s[76:77]
	s_and_b64 s[74:75], exec, s[78:79]
	s_or_b64 s[60:61], s[74:75], s[60:61]
	s_andn2_b64 s[62:63], s[62:63], exec
	s_and_b64 s[74:75], s[72:73], exec
	s_or_b64 s[62:63], s[62:63], s[74:75]
	s_andn2_b64 exec, exec, s[60:61]
	s_cbranch_execz .LBB12_1825
.LBB12_1821:                            ;   Parent Loop BB12_952 Depth=1
                                        ; =>  This Inner Loop Header: Depth=2
	s_add_i32 s88, s88, 1
	s_cmpk_lg_i32 s88, 0x2710
	s_cselect_b64 s[74:75], -1, 0
	s_and_b64 vcc, exec, s[74:75]
	s_cbranch_vccz .LBB12_1823
; %bb.1822:                             ;   in Loop: Header=BB12_1821 Depth=2
	s_mov_b64 s[78:79], -1
	s_or_b64 s[72:73], s[72:73], exec
	s_and_saveexec_b64 s[76:77], s[74:75]
	s_cbranch_execz .LBB12_1820
	s_branch .LBB12_1824
.LBB12_1823:                            ;   in Loop: Header=BB12_1821 Depth=2
	s_trap 2
	ds_read_b64 v[2:3], v0
	s_andn2_b64 s[74:75], s[74:75], exec
	s_mov_b32 s88, 0
	s_waitcnt vmcnt(0) lgkmcnt(0)
	flat_load_dword v0, v[2:3] glc
	s_waitcnt vmcnt(0) lgkmcnt(0)
	buffer_wbinvl1_vol
	v_cmp_eq_u32_e32 vcc, 0, v0
	s_and_b64 s[76:77], vcc, exec
	s_or_b64 s[74:75], s[74:75], s[76:77]
	s_mov_b64 s[78:79], -1
	s_or_b64 s[72:73], s[72:73], exec
	s_and_saveexec_b64 s[76:77], s[74:75]
	s_cbranch_execz .LBB12_1820
.LBB12_1824:                            ;   in Loop: Header=BB12_1821 Depth=2
	s_sleep 1
	s_trap 2
	ds_read_b64 v[2:3], v0
	s_waitcnt lgkmcnt(0)
	buffer_load_dword v4, off, s[0:3], s33 offset:160 ; 4-byte Folded Reload
	buffer_load_dword v5, off, s[0:3], s33 offset:164 ; 4-byte Folded Reload
	s_andn2_b64 s[72:73], s[72:73], exec
	s_waitcnt vmcnt(0)
	v_cmp_ge_u64_e32 vcc, v[2:3], v[4:5]
	s_orn2_b64 s[78:79], vcc, exec
	s_branch .LBB12_1820
.LBB12_1825:                            ;   in Loop: Header=BB12_952 Depth=1
	s_or_b64 exec, exec, s[60:61]
	s_and_saveexec_b64 s[60:61], s[62:63]
	s_xor_b64 s[60:61], exec, s[60:61]
	s_cbranch_execz .LBB12_1827
; %bb.1826:                             ;   in Loop: Header=BB12_952 Depth=1
	v_mov_b32_e32 v0, 1
	ds_write_b32 v0, v0
	s_trap 2
.LBB12_1827:                            ;   in Loop: Header=BB12_952 Depth=1
	s_or_b64 exec, exec, s[58:59]
	;;#ASMSTART
	s_wakeup
	;;#ASMEND
.LBB12_1828:                            ;   in Loop: Header=BB12_952 Depth=1
	s_or_b64 exec, exec, s[56:57]
.LBB12_1829:                            ;   in Loop: Header=BB12_952 Depth=1
	s_andn2_saveexec_b64 s[46:47], s[46:47]
	s_cbranch_execz .LBB12_1831
; %bb.1830:                             ;   in Loop: Header=BB12_952 Depth=1
	s_waitcnt vmcnt(0) lgkmcnt(0)
	buffer_wbinvl1_vol
	s_barrier
.LBB12_1831:                            ;   in Loop: Header=BB12_952 Depth=1
	s_or_b64 exec, exec, s[46:47]
.LBB12_1832:                            ;   in Loop: Header=BB12_952 Depth=1
	s_or_b64 exec, exec, s[18:19]
	s_trap 2
	ds_read_b32 v0, v0
	v_sub_u32_e32 v2, v51, v8
	v_min_i32_e32 v2, v52, v2
	v_cmp_lt_i32_e32 vcc, 0, v2
	s_waitcnt lgkmcnt(0)
	v_readfirstlane_b32 s18, v0
	s_cmp_eq_u32 s18, 0
	s_cselect_b64 s[18:19], -1, 0
	v_and_b32_e32 v0, 16, v53
	s_and_b64 s[18:19], vcc, s[18:19]
	v_cmp_ne_u32_e32 vcc, 0, v0
	s_and_b64 s[46:47], vcc, s[18:19]
	s_and_saveexec_b64 s[18:19], s[46:47]
	s_cbranch_execz .LBB12_1834
; %bb.1833:                             ;   in Loop: Header=BB12_952 Depth=1
	s_waitcnt vmcnt(0)
	buffer_wbinvl1_vol
.LBB12_1834:                            ;   in Loop: Header=BB12_952 Depth=1
	s_or_b64 exec, exec, s[18:19]
	v_and_b32_e32 v0, 32, v53
	v_cmp_ne_u32_e32 vcc, 0, v0
	s_and_saveexec_b64 s[18:19], vcc
	s_cbranch_execz .LBB12_950
; %bb.1835:                             ;   in Loop: Header=BB12_952 Depth=1
	buffer_load_dword v2, off, s[0:3], s33 offset:144 ; 4-byte Folded Reload
	buffer_load_dword v3, off, s[0:3], s33 offset:148 ; 4-byte Folded Reload
	;; [unrolled: 1-line block ×4, first 2 shown]
	s_waitcnt vmcnt(0)
	v_add_co_u32_e32 v4, vcc, 1, v4
	v_addc_co_u32_e32 v5, vcc, 0, v5, vcc
	buffer_store_dword v2, off, s[0:3], s33 offset:144 ; 4-byte Folded Spill
	s_nop 0
	buffer_store_dword v3, off, s[0:3], s33 offset:148 ; 4-byte Folded Spill
	buffer_store_dword v4, off, s[0:3], s33 offset:152 ; 4-byte Folded Spill
	;; [unrolled: 1-line block ×3, first 2 shown]
	buffer_load_dword v2, off, s[0:3], s33 offset:136 ; 4-byte Folded Reload
	s_nop 0
	buffer_load_dword v3, off, s[0:3], s33 offset:140 ; 4-byte Folded Reload
	s_waitcnt vmcnt(0)
	flat_store_dwordx2 v[2:3], v[4:5]
	s_branch .LBB12_950
.LBB12_1836:
	s_or_b64 exec, exec, s[42:43]
.LBB12_1837:
	s_or_b64 exec, exec, s[28:29]
.LBB12_1838:
	s_or_b64 exec, exec, s[22:23]
                                        ; implicit-def: $vgpr0_vgpr1
                                        ; kill: killed $vgpr0_vgpr1
                                        ; implicit-def: $vgpr0_vgpr1
	buffer_store_dword v0, off, s[0:3], s33 offset:264 ; 4-byte Folded Spill
	s_nop 0
	buffer_store_dword v1, off, s[0:3], s33 offset:268 ; 4-byte Folded Spill
	buffer_store_dword v2, off, s[0:3], s33 offset:272 ; 4-byte Folded Spill
	;; [unrolled: 1-line block ×3, first 2 shown]
                                        ; implicit-def: $vgpr0_vgpr1
                                        ; kill: killed $vgpr0_vgpr1
                                        ; implicit-def: $vgpr0
                                        ; kill: killed $vgpr0
                                        ; implicit-def: $vgpr0_vgpr1
                                        ; kill: killed $vgpr0_vgpr1
                                        ; implicit-def: $vgpr0_vgpr1
                                        ; kill: killed $vgpr0_vgpr1
	;; [unrolled: 2-line block ×3, first 2 shown]
                                        ; implicit-def: $vgpr0
                                        ; implicit-def: $vgpr14
                                        ; implicit-def: $vgpr1
	buffer_store_dword v1, off, s[0:3], s33 offset:280 ; 4-byte Folded Spill
	s_nop 0
	buffer_store_dword v2, off, s[0:3], s33 offset:284 ; 4-byte Folded Spill
.LBB12_1839:
	s_andn2_saveexec_b64 s[22:23], s[26:27]
	s_cbranch_execz .LBB12_2042
; %bb.1840:
	v_mov_b32_e32 v1, 0
	v_mov_b32_e32 v2, 0
	buffer_store_dword v1, off, s[0:3], s33 offset:160 ; 4-byte Folded Spill
	s_nop 0
	buffer_store_dword v2, off, s[0:3], s33 offset:164 ; 4-byte Folded Spill
	buffer_load_dword v1, off, s[0:3], s33 offset:264 ; 4-byte Folded Reload
	s_nop 0
	buffer_load_dword v2, off, s[0:3], s33 offset:268 ; 4-byte Folded Reload
	buffer_load_dword v3, off, s[0:3], s33 offset:272 ; 4-byte Folded Reload
	;; [unrolled: 1-line block ×3, first 2 shown]
	s_waitcnt vmcnt(0)
	v_cmp_ne_u64_e32 vcc, 0, v[1:2]
	s_and_saveexec_b64 s[26:27], vcc
	s_cbranch_execz .LBB12_2041
; %bb.1841:
	buffer_load_dword v2, off, s[0:3], s33 offset:408 ; 4-byte Folded Reload
	s_trap 2
	buffer_load_dword v1, off, s[0:3], s33 offset:460 ; 4-byte Folded Reload
	s_lshr_b32 s6, s30, 27
	s_add_i32 s30, s30, s6
	s_movk_i32 s95, 0x2000
	s_ashr_i32 s94, s30, 5
	s_movk_i32 s30, 0x800
	v_mov_b32_e32 v10, 0
	v_mov_b32_e32 v40, 0
	s_mov_b64 s[40:41], 0
	v_mov_b32_e32 v11, 0
	s_movk_i32 s31, 0x1000
	s_waitcnt vmcnt(0)
	v_cmp_ge_i32_e64 s[6:7], v0, v2
	v_cmp_eq_u32_e32 vcc, 64, v2
	v_cmp_ne_u32_sdwa s[28:29], v2, v1 src0_sel:DWORD src1_sel:WORD_0
	buffer_load_dword v1, off, s[0:3], s33 offset:444 ; 4-byte Folded Reload
	v_cmp_ne_u32_e64 s[10:11], 64, v2
	v_lshrrev_b32_e32 v54, 6, v2
	v_lshlrev_b32_e32 v44, 10, v54
	v_add_u32_e32 v57, 0xfffffc00, v44
	v_ashrrev_i32_e32 v55, 31, v57
	v_lshlrev_b32_e32 v61, 7, v54
	s_xor_b64 s[42:43], vcc, -1
	s_waitcnt vmcnt(0)
	v_and_b32_e32 v1, 63, v1
	v_cmp_eq_u32_e64 s[12:13], 0, v1
	v_ashrrev_i32_e32 v1, 31, v0
	v_lshrrev_b32_e32 v1, 26, v1
	v_add_u32_e32 v1, v0, v1
	v_and_b32_e32 v2, 0xffffffc0, v1
	v_sub_u32_e32 v0, v0, v2
	v_cmp_gt_i32_e64 s[14:15], 1, v0
	v_cmp_lt_i32_e64 s[16:17], v0, v14
	v_ashrrev_i32_e32 v1, 6, v1
	buffer_store_dword v0, off, s[0:3], s33 offset:360 ; 4-byte Folded Spill
	v_lshlrev_b32_e32 v0, 4, v0
	v_lshl_add_u32 v0, v1, 13, v0
	buffer_store_dword v0, off, s[0:3], s33 offset:364 ; 4-byte Folded Spill
	v_ashrrev_i32_e32 v0, 31, v0
	buffer_store_dword v0, off, s[0:3], s33 offset:368 ; 4-byte Folded Spill
	v_mov_b32_e32 v0, 0xffffe000
	v_lshl_add_u32 v0, v54, 13, v0
	buffer_store_dword v1, off, s[0:3], s33 offset:328 ; 4-byte Folded Spill
	v_ashrrev_i32_e32 v1, 31, v0
	v_add_co_u32_e64 v2, s[18:19], s95, v0
	buffer_store_dword v2, off, s[0:3], s33 offset:168 ; 4-byte Folded Spill
	buffer_store_dword v0, off, s[0:3], s33 offset:288 ; 4-byte Folded Spill
	s_nop 0
	buffer_store_dword v1, off, s[0:3], s33 offset:292 ; 4-byte Folded Spill
	v_addc_co_u32_e64 v0, s[18:19], 0, v1, s[18:19]
	buffer_store_dword v0, off, s[0:3], s33 offset:184 ; 4-byte Folded Spill
	s_movk_i32 s18, 0x400
	v_mov_b32_e32 v0, 0xfffff800
	v_add_co_u32_e64 v47, s[18:19], s18, v57
	v_lshl_add_u32 v0, v54, 11, v0
	v_addc_co_u32_e64 v56, s[18:19], 0, v55, s[18:19]
	v_ashrrev_i32_e32 v1, 31, v0
	v_add_co_u32_e64 v59, s[18:19], s30, v0
	buffer_store_dword v0, off, s[0:3], s33 offset:296 ; 4-byte Folded Spill
	s_nop 0
	buffer_store_dword v1, off, s[0:3], s33 offset:300 ; 4-byte Folded Spill
	v_add_u32_e32 v0, 0xffffff80, v61
	v_addc_co_u32_e64 v60, s[18:19], 0, v1, s[18:19]
	v_ashrrev_i32_e32 v1, 31, v0
	buffer_store_dword v0, off, s[0:3], s33 offset:372 ; 4-byte Folded Spill
	s_nop 0
	buffer_store_dword v1, off, s[0:3], s33 offset:376 ; 4-byte Folded Spill
	s_movk_i32 s18, 0x80
	v_add_co_u32_e64 v62, s[18:19], s18, v0
	v_addc_co_u32_e64 v0, s[18:19], 0, v1, s[18:19]
	buffer_store_dword v0, off, s[0:3], s33 offset:380 ; 4-byte Folded Spill
	buffer_load_dword v0, off, s[0:3], s33 offset:416 ; 4-byte Folded Reload
	s_nop 0
	buffer_load_dword v1, off, s[0:3], s33 offset:420 ; 4-byte Folded Reload
	s_waitcnt vmcnt(0)
	v_cmp_ne_u64_e64 s[18:19], 0, v[0:1]
	v_mov_b32_e32 v0, 0
	v_mov_b32_e32 v1, 0
	buffer_store_dword v0, off, s[0:3], s33 offset:160 ; 4-byte Folded Spill
	s_nop 0
	buffer_store_dword v1, off, s[0:3], s33 offset:164 ; 4-byte Folded Spill
	buffer_load_dword v0, off, s[0:3], s33 offset:264 ; 4-byte Folded Reload
	s_nop 0
	buffer_load_dword v1, off, s[0:3], s33 offset:268 ; 4-byte Folded Reload
	buffer_load_dword v2, off, s[0:3], s33 offset:272 ; 4-byte Folded Reload
	;; [unrolled: 1-line block ×5, first 2 shown]
	s_nop 0
	buffer_store_dword v44, off, s[0:3], s33 offset:396 ; 4-byte Folded Spill
	buffer_store_dword v57, off, s[0:3], s33 offset:424 ; 4-byte Folded Spill
	;; [unrolled: 1-line block ×9, first 2 shown]
	s_branch .LBB12_1845
.LBB12_1842:                            ;   in Loop: Header=BB12_1845 Depth=1
	s_or_b64 exec, exec, s[44:45]
	buffer_load_dword v0, off, s[0:3], s33 offset:144 ; 4-byte Folded Reload
	buffer_load_dword v1, off, s[0:3], s33 offset:148 ; 4-byte Folded Reload
	buffer_load_dword v2, off, s[0:3], s33 offset:152 ; 4-byte Folded Reload
	buffer_load_dword v3, off, s[0:3], s33 offset:156 ; 4-byte Folded Reload
	s_waitcnt vmcnt(0)
	v_add_co_u32_e32 v2, vcc, 1, v2
	v_addc_co_u32_e32 v3, vcc, 0, v3, vcc
	buffer_store_dword v0, off, s[0:3], s33 offset:144 ; 4-byte Folded Spill
	s_nop 0
	buffer_store_dword v1, off, s[0:3], s33 offset:148 ; 4-byte Folded Spill
	buffer_store_dword v2, off, s[0:3], s33 offset:152 ; 4-byte Folded Spill
	;; [unrolled: 1-line block ×3, first 2 shown]
	buffer_load_dword v0, off, s[0:3], s33 offset:136 ; 4-byte Folded Reload
	s_nop 0
	buffer_load_dword v1, off, s[0:3], s33 offset:140 ; 4-byte Folded Reload
	s_waitcnt vmcnt(0)
	flat_store_dwordx2 v[0:1], v[2:3]
.LBB12_1843:                            ;   in Loop: Header=BB12_1845 Depth=1
	s_or_b64 exec, exec, s[20:21]
.LBB12_1844:                            ;   in Loop: Header=BB12_1845 Depth=1
	s_or_b64 exec, exec, s[46:47]
	buffer_load_dword v4, off, s[0:3], s33 offset:280 ; 4-byte Folded Reload
	buffer_load_dword v5, off, s[0:3], s33 offset:284 ; 4-byte Folded Reload
	;; [unrolled: 1-line block ×6, first 2 shown]
	s_waitcnt vmcnt(0)
	v_add_co_u32_e32 v10, vcc, v10, v4
	v_addc_co_u32_e32 v11, vcc, 0, v11, vcc
	v_cmp_ge_u64_e32 vcc, v[10:11], v[0:1]
	s_or_b64 s[40:41], vcc, s[40:41]
	s_andn2_b64 exec, exec, s[40:41]
	s_cbranch_execz .LBB12_2040
.LBB12_1845:                            ; =>This Loop Header: Depth=1
                                        ;     Child Loop BB12_1854 Depth 2
                                        ;     Child Loop BB12_1878 Depth 2
                                        ;     Child Loop BB12_1897 Depth 2
                                        ;     Child Loop BB12_1922 Depth 2
                                        ;     Child Loop BB12_1934 Depth 2
                                        ;     Child Loop BB12_1950 Depth 2
                                        ;     Child Loop BB12_1961 Depth 2
                                        ;     Child Loop BB12_1975 Depth 2
                                        ;     Child Loop BB12_2000 Depth 2
                                        ;     Child Loop BB12_2024 Depth 2
	s_waitcnt vmcnt(0)
	v_sub_co_u32_e32 v0, vcc, v0, v10
	v_subb_co_u32_e32 v1, vcc, v1, v11, vcc
	v_cmp_lt_u64_e32 vcc, v[4:5], v[0:1]
	v_cndmask_b32_e64 v43, v1, 0, vcc
	v_cndmask_b32_e32 v42, v0, v4, vcc
	v_cmp_eq_u64_e32 vcc, 0, v[42:43]
	v_add_u32_e32 v0, 15, v42
	v_and_b32_e32 v0, 0x3ffffff0, v0
	s_or_b64 s[44:45], s[6:7], vcc
	v_max_i32_e32 v43, s94, v0
	s_xor_b64 s[20:21], s[44:45], -1
	v_mov_b32_e32 v0, 0
	s_and_saveexec_b64 s[46:47], s[20:21]
	s_cbranch_execz .LBB12_1993
; %bb.1846:                             ;   in Loop: Header=BB12_1845 Depth=1
	s_and_saveexec_b64 s[20:21], s[4:5]
	s_cbranch_execz .LBB12_1848
; %bb.1847:                             ;   in Loop: Header=BB12_1845 Depth=1
	s_trap 2
	ds_read_b64 v[0:1], v0
	buffer_load_dword v2, off, s[0:3], s33 offset:400 ; 4-byte Folded Reload
	buffer_load_dword v3, off, s[0:3], s33 offset:404 ; 4-byte Folded Reload
	v_mov_b32_e32 v39, v40
	s_waitcnt vmcnt(0)
	v_lshlrev_b64 v[2:3], 1, v[2:3]
	s_waitcnt lgkmcnt(0)
	v_add_co_u32_e32 v2, vcc, v0, v2
	v_addc_co_u32_e32 v3, vcc, v1, v3, vcc
	v_lshlrev_b64 v[0:1], 1, v[10:11]
	v_add_co_u32_e32 v0, vcc, v2, v0
	v_addc_co_u32_e32 v1, vcc, v3, v1, vcc
	ds_write_b64 v0, v[0:1]
	ds_write_b64 v0, v[39:40]
.LBB12_1848:                            ;   in Loop: Header=BB12_1845 Depth=1
	s_or_b64 exec, exec, s[20:21]
	v_and_b32_e32 v0, 8, v53
	v_min_u32_e32 v43, v43, v42
	v_cmp_ne_u32_e32 vcc, 0, v0
	s_and_saveexec_b64 s[56:57], vcc
	s_cbranch_execz .LBB12_1870
; %bb.1849:                             ;   in Loop: Header=BB12_1845 Depth=1
	buffer_load_dword v0, off, s[0:3], s33 offset:128 ; 4-byte Folded Reload
	buffer_load_dword v1, off, s[0:3], s33 offset:132 ; 4-byte Folded Reload
	;; [unrolled: 1-line block ×6, first 2 shown]
	s_waitcnt vmcnt(0)
	v_add_co_u32_e32 v2, vcc, 8, v0
	v_addc_co_u32_e32 v3, vcc, 0, v1, vcc
	v_add_co_u32_e32 v0, vcc, 1, v6
	v_addc_co_u32_e32 v1, vcc, 0, v7, vcc
	v_cmp_lt_u64_e32 vcc, v[2:3], v[0:1]
	s_and_saveexec_b64 s[58:59], vcc
	s_cbranch_execz .LBB12_1861
; %bb.1850:                             ;   in Loop: Header=BB12_1845 Depth=1
	v_and_b32_e32 v2, 64, v53
	s_mov_b32 s34, 0
	v_cmp_eq_u32_e32 vcc, 0, v2
	s_mov_b64 s[60:61], 0
                                        ; implicit-def: $sgpr62_sgpr63
                                        ; implicit-def: $sgpr72_sgpr73
                                        ; implicit-def: $sgpr74_sgpr75
	s_branch .LBB12_1854
.LBB12_1851:                            ;   in Loop: Header=BB12_1854 Depth=2
	buffer_load_dword v3, off, s[0:3], s33 offset:128 ; 4-byte Folded Reload
	buffer_load_dword v4, off, s[0:3], s33 offset:132 ; 4-byte Folded Reload
	s_or_b64 s[88:89], s[88:89], exec
	s_waitcnt vmcnt(1)
	v_add_co_u32_e64 v3, s[20:21], 8, v3
	s_waitcnt vmcnt(0)
	v_addc_co_u32_e64 v4, s[20:21], 0, v4, s[20:21]
	v_cmp_ge_u64_e64 s[20:21], v[3:4], v[0:1]
	s_orn2_b64 s[78:79], s[20:21], exec
.LBB12_1852:                            ;   in Loop: Header=BB12_1854 Depth=2
	s_or_b64 exec, exec, s[92:93]
	s_andn2_b64 s[20:21], s[74:75], exec
	s_and_b64 s[74:75], s[88:89], exec
	s_or_b64 s[74:75], s[20:21], s[74:75]
	s_andn2_b64 s[20:21], s[72:73], exec
	s_and_b64 s[72:73], s[78:79], exec
	s_or_b64 s[72:73], s[20:21], s[72:73]
.LBB12_1853:                            ;   in Loop: Header=BB12_1854 Depth=2
	s_or_b64 exec, exec, s[76:77]
	s_and_b64 s[20:21], exec, s[72:73]
	s_or_b64 s[60:61], s[20:21], s[60:61]
	s_andn2_b64 s[20:21], s[62:63], exec
	s_and_b64 s[62:63], s[74:75], exec
	s_or_b64 s[62:63], s[20:21], s[62:63]
	s_andn2_b64 exec, exec, s[60:61]
	s_cbranch_execz .LBB12_1858
.LBB12_1854:                            ;   Parent Loop BB12_1845 Depth=1
                                        ; =>  This Inner Loop Header: Depth=2
	s_sleep 1
	buffer_load_dword v2, off, s[0:3], s33 offset:136 ; 4-byte Folded Reload
	buffer_load_dword v3, off, s[0:3], s33 offset:140 ; 4-byte Folded Reload
	s_or_b64 s[74:75], s[74:75], exec
	s_or_b64 s[72:73], s[72:73], exec
	s_waitcnt vmcnt(0)
	flat_load_dwordx2 v[2:3], v[2:3] glc
	s_waitcnt vmcnt(0) lgkmcnt(0)
	buffer_store_dword v2, off, s[0:3], s33 offset:128 ; 4-byte Folded Spill
	s_nop 0
	buffer_store_dword v3, off, s[0:3], s33 offset:132 ; 4-byte Folded Spill
                                        ; implicit-def: $vgpr2
	s_and_saveexec_b64 s[76:77], vcc
	s_cbranch_execz .LBB12_1853
; %bb.1855:                             ;   in Loop: Header=BB12_1854 Depth=2
	s_cmpk_lt_i32 s34, 0x270f
	s_cselect_b64 s[90:91], -1, 0
	s_cmpk_gt_i32 s34, 0x270e
	s_mov_b64 s[78:79], -1
	s_cbranch_scc0 .LBB12_1857
; %bb.1856:                             ;   in Loop: Header=BB12_1854 Depth=2
	s_trap 2
	ds_read_b64 v[2:3], v0
	s_andn2_b64 s[90:91], s[90:91], exec
	s_mov_b32 s34, 0
	s_mov_b64 s[88:89], 0
	s_waitcnt vmcnt(0) lgkmcnt(0)
	flat_load_dword v2, v[2:3] glc
	s_waitcnt vmcnt(0) lgkmcnt(0)
	buffer_wbinvl1_vol
	v_cmp_eq_u32_e64 s[20:21], 0, v2
	s_and_b64 s[20:21], s[20:21], exec
	s_or_b64 s[90:91], s[90:91], s[20:21]
	s_and_saveexec_b64 s[92:93], s[90:91]
	s_cbranch_execz .LBB12_1852
	s_branch .LBB12_1851
.LBB12_1857:                            ;   in Loop: Header=BB12_1854 Depth=2
	s_add_i32 s34, s34, 1
	s_mov_b64 s[88:89], -1
                                        ; implicit-def: $vgpr2
	s_and_saveexec_b64 s[92:93], s[90:91]
	s_cbranch_execz .LBB12_1852
	s_branch .LBB12_1851
.LBB12_1858:                            ;   in Loop: Header=BB12_1845 Depth=1
	s_or_b64 exec, exec, s[60:61]
	s_xor_b64 s[20:21], s[62:63], -1
	s_and_saveexec_b64 s[60:61], s[20:21]
	s_xor_b64 s[20:21], exec, s[60:61]
	s_cbranch_execz .LBB12_1860
; %bb.1859:                             ;   in Loop: Header=BB12_1845 Depth=1
	v_or_b32_e32 v53, 64, v53
	ds_write_b32 v0, v2
	s_trap 2
.LBB12_1860:                            ;   in Loop: Header=BB12_1845 Depth=1
	s_or_b64 exec, exec, s[20:21]
.LBB12_1861:                            ;   in Loop: Header=BB12_1845 Depth=1
	s_or_b64 exec, exec, s[58:59]
	v_and_b32_e32 v2, 0x100, v53
	;;#ASMSTART
	s_wakeup
	;;#ASMEND
	v_cmp_ne_u32_e32 vcc, 0, v2
	buffer_load_dword v2, off, s[0:3], s33 offset:144 ; 4-byte Folded Reload
	buffer_load_dword v3, off, s[0:3], s33 offset:148 ; 4-byte Folded Reload
	;; [unrolled: 1-line block ×4, first 2 shown]
	s_mov_b64 s[20:21], -1
                                        ; implicit-def: $vgpr2_vgpr3
	s_waitcnt vmcnt(0)
	v_and_b32_e32 v6, 7, v4
	s_and_saveexec_b64 s[58:59], vcc
	s_cbranch_execz .LBB12_1865
; %bb.1862:                             ;   in Loop: Header=BB12_1845 Depth=1
	buffer_load_dword v2, off, s[0:3], s33 offset:144 ; 4-byte Folded Reload
	buffer_load_dword v3, off, s[0:3], s33 offset:148 ; 4-byte Folded Reload
	;; [unrolled: 1-line block ×4, first 2 shown]
	v_lshlrev_b32_e32 v39, 1, v43
	s_waitcnt vmcnt(0)
	v_mad_u64_u32 v[4:5], s[20:21], v6, 24, v[2:3]
	flat_load_dword v2, v[4:5]
	s_nop 0
	flat_store_dwordx2 v[4:5], v[39:40] offset:8
	s_waitcnt vmcnt(0) lgkmcnt(0)
	v_cmp_ne_u32_e32 vcc, 1, v2
	v_cmp_eq_u32_e64 s[20:21], 1, v2
                                        ; implicit-def: $vgpr2_vgpr3
	s_and_saveexec_b64 s[60:61], s[20:21]
	s_cbranch_execz .LBB12_1864
; %bb.1863:                             ;   in Loop: Header=BB12_1845 Depth=1
	flat_load_dword v2, v[4:5] offset:4 glc
	s_waitcnt vmcnt(0) lgkmcnt(0)
	v_ashrrev_i32_e32 v3, 31, v2
	v_lshrrev_b64 v[2:3], 1, v[2:3]
.LBB12_1864:                            ;   in Loop: Header=BB12_1845 Depth=1
	s_or_b64 exec, exec, s[60:61]
	s_orn2_b64 s[20:21], vcc, exec
.LBB12_1865:                            ;   in Loop: Header=BB12_1845 Depth=1
	s_or_b64 exec, exec, s[58:59]
	s_and_saveexec_b64 s[58:59], s[20:21]
	s_cbranch_execz .LBB12_1867
; %bb.1866:                             ;   in Loop: Header=BB12_1845 Depth=1
	buffer_load_dword v2, off, s[0:3], s33 offset:412 ; 4-byte Folded Reload
	s_waitcnt vmcnt(0)
	v_mad_i64_i32 v[2:3], s[20:21], v6, v2, 0
.LBB12_1867:                            ;   in Loop: Header=BB12_1845 Depth=1
	s_or_b64 exec, exec, s[58:59]
	buffer_load_dword v4, off, s[0:3], s33 offset:320 ; 4-byte Folded Reload
	buffer_load_dword v5, off, s[0:3], s33 offset:324 ; 4-byte Folded Reload
	v_lshlrev_b64 v[2:3], 1, v[2:3]
	s_waitcnt vmcnt(0)
	v_add_co_u32_e32 v2, vcc, v4, v2
	v_addc_co_u32_e32 v3, vcc, v5, v3, vcc
	ds_write_b64 v0, v[2:3] offset:784
	v_and_b32_e32 v2, 0x2000, v53
	v_cmp_ne_u32_e32 vcc, 0, v2
	s_and_saveexec_b64 s[20:21], vcc
	s_cbranch_execz .LBB12_1869
; %bb.1868:                             ;   in Loop: Header=BB12_1845 Depth=1
	ds_read_b64 v[2:3], v0 offset:872
	s_waitcnt lgkmcnt(0)
	v_add_co_u32_e32 v2, vcc, 1, v2
	v_addc_co_u32_e32 v3, vcc, 0, v3, vcc
	ds_write_b64 v0, v[2:3] offset:872
.LBB12_1869:                            ;   in Loop: Header=BB12_1845 Depth=1
	s_or_b64 exec, exec, s[20:21]
	buffer_load_dword v2, off, s[0:3], s33 offset:144 ; 4-byte Folded Reload
	buffer_load_dword v3, off, s[0:3], s33 offset:148 ; 4-byte Folded Reload
	;; [unrolled: 1-line block ×4, first 2 shown]
	s_waitcnt vmcnt(0)
	v_mov_b32_e32 v5, v1
	v_mov_b32_e32 v4, v0
	buffer_store_dword v2, off, s[0:3], s33 offset:144 ; 4-byte Folded Spill
	s_nop 0
	buffer_store_dword v3, off, s[0:3], s33 offset:148 ; 4-byte Folded Spill
	buffer_store_dword v4, off, s[0:3], s33 offset:152 ; 4-byte Folded Spill
	buffer_store_dword v5, off, s[0:3], s33 offset:156 ; 4-byte Folded Spill
.LBB12_1870:                            ;   in Loop: Header=BB12_1845 Depth=1
	s_or_b64 exec, exec, s[56:57]
	s_and_saveexec_b64 s[20:21], s[10:11]
	s_cbranch_execz .LBB12_1889
; %bb.1871:                             ;   in Loop: Header=BB12_1845 Depth=1
	s_and_saveexec_b64 s[56:57], s[28:29]
	s_xor_b64 s[56:57], exec, s[56:57]
	s_cbranch_execz .LBB12_1886
; %bb.1872:                             ;   in Loop: Header=BB12_1845 Depth=1
	s_and_saveexec_b64 s[58:59], s[12:13]
	s_cbranch_execz .LBB12_1885
; %bb.1873:                             ;   in Loop: Header=BB12_1845 Depth=1
	s_mov_b64 s[62:63], exec
	v_mbcnt_lo_u32_b32 v0, s62, 0
	v_mbcnt_hi_u32_b32 v0, s63, v0
	v_cmp_eq_u32_e32 vcc, 0, v0
	s_waitcnt vmcnt(0) lgkmcnt(0)
	buffer_wbinvl1_vol
	s_and_saveexec_b64 s[60:61], vcc
	s_cbranch_execz .LBB12_1875
; %bb.1874:                             ;   in Loop: Header=BB12_1845 Depth=1
	s_bcnt1_i32_b64 s62, s[62:63]
	v_mov_b32_e32 v39, s62
	ds_add_u64 v0, v[39:40]
	s_trap 2
.LBB12_1875:                            ;   in Loop: Header=BB12_1845 Depth=1
	s_or_b64 exec, exec, s[60:61]
	s_trap 2
	ds_read_b64 v[0:1], v0
	s_waitcnt lgkmcnt(0)
	buffer_load_dword v2, off, s[0:3], s33 offset:160 ; 4-byte Folded Reload
	buffer_load_dword v3, off, s[0:3], s33 offset:164 ; 4-byte Folded Reload
	s_waitcnt vmcnt(1)
	v_add_co_u32_e32 v2, vcc, v2, v54
	s_waitcnt vmcnt(0)
	v_addc_co_u32_e32 v3, vcc, 0, v3, vcc
	buffer_store_dword v2, off, s[0:3], s33 offset:160 ; 4-byte Folded Spill
	s_nop 0
	buffer_store_dword v3, off, s[0:3], s33 offset:164 ; 4-byte Folded Spill
	v_cmp_lt_u64_e32 vcc, v[0:1], v[2:3]
	s_and_saveexec_b64 s[60:61], vcc
	s_cbranch_execz .LBB12_1884
; %bb.1876:                             ;   in Loop: Header=BB12_1845 Depth=1
	s_mov_b32 s90, 0
	s_mov_b64 s[62:63], 0
                                        ; implicit-def: $sgpr72_sgpr73
                                        ; implicit-def: $sgpr74_sgpr75
	s_branch .LBB12_1878
.LBB12_1877:                            ;   in Loop: Header=BB12_1878 Depth=2
	s_or_b64 exec, exec, s[78:79]
	s_and_b64 s[76:77], exec, s[88:89]
	s_or_b64 s[62:63], s[76:77], s[62:63]
	s_andn2_b64 s[72:73], s[72:73], exec
	s_and_b64 s[76:77], s[74:75], exec
	s_or_b64 s[72:73], s[72:73], s[76:77]
	s_andn2_b64 exec, exec, s[62:63]
	s_cbranch_execz .LBB12_1882
.LBB12_1878:                            ;   Parent Loop BB12_1845 Depth=1
                                        ; =>  This Inner Loop Header: Depth=2
	s_add_i32 s90, s90, 1
	s_cmpk_lg_i32 s90, 0x2710
	s_cselect_b64 s[76:77], -1, 0
	s_and_b64 vcc, exec, s[76:77]
	s_cbranch_vccz .LBB12_1880
; %bb.1879:                             ;   in Loop: Header=BB12_1878 Depth=2
	s_mov_b64 s[88:89], -1
	s_or_b64 s[74:75], s[74:75], exec
	s_and_saveexec_b64 s[78:79], s[76:77]
	s_cbranch_execz .LBB12_1877
	s_branch .LBB12_1881
.LBB12_1880:                            ;   in Loop: Header=BB12_1878 Depth=2
	s_trap 2
	ds_read_b64 v[0:1], v0
	s_andn2_b64 s[76:77], s[76:77], exec
	s_mov_b32 s90, 0
	s_waitcnt vmcnt(0) lgkmcnt(0)
	flat_load_dword v0, v[0:1] glc
	s_waitcnt vmcnt(0) lgkmcnt(0)
	buffer_wbinvl1_vol
	v_cmp_eq_u32_e32 vcc, 0, v0
	s_and_b64 s[78:79], vcc, exec
	s_or_b64 s[76:77], s[76:77], s[78:79]
	s_mov_b64 s[88:89], -1
	s_or_b64 s[74:75], s[74:75], exec
	s_and_saveexec_b64 s[78:79], s[76:77]
	s_cbranch_execz .LBB12_1877
.LBB12_1881:                            ;   in Loop: Header=BB12_1878 Depth=2
	s_sleep 1
	s_trap 2
	ds_read_b64 v[0:1], v0
	s_waitcnt lgkmcnt(0)
	buffer_load_dword v2, off, s[0:3], s33 offset:160 ; 4-byte Folded Reload
	buffer_load_dword v3, off, s[0:3], s33 offset:164 ; 4-byte Folded Reload
	s_andn2_b64 s[74:75], s[74:75], exec
	s_waitcnt vmcnt(0)
	v_cmp_ge_u64_e32 vcc, v[0:1], v[2:3]
	s_orn2_b64 s[88:89], vcc, exec
	s_branch .LBB12_1877
.LBB12_1882:                            ;   in Loop: Header=BB12_1845 Depth=1
	s_or_b64 exec, exec, s[62:63]
	s_and_saveexec_b64 s[62:63], s[72:73]
	s_xor_b64 s[62:63], exec, s[62:63]
	s_cbranch_execz .LBB12_1884
; %bb.1883:                             ;   in Loop: Header=BB12_1845 Depth=1
	v_mov_b32_e32 v0, 1
	ds_write_b32 v0, v0
	s_trap 2
.LBB12_1884:                            ;   in Loop: Header=BB12_1845 Depth=1
	s_or_b64 exec, exec, s[60:61]
	;;#ASMSTART
	s_wakeup
	;;#ASMEND
.LBB12_1885:                            ;   in Loop: Header=BB12_1845 Depth=1
	s_or_b64 exec, exec, s[58:59]
.LBB12_1886:                            ;   in Loop: Header=BB12_1845 Depth=1
	s_andn2_saveexec_b64 s[56:57], s[56:57]
	s_cbranch_execz .LBB12_1888
; %bb.1887:                             ;   in Loop: Header=BB12_1845 Depth=1
	s_waitcnt vmcnt(0) lgkmcnt(0)
	buffer_wbinvl1_vol
	s_barrier
.LBB12_1888:                            ;   in Loop: Header=BB12_1845 Depth=1
	s_or_b64 exec, exec, s[56:57]
.LBB12_1889:                            ;   in Loop: Header=BB12_1845 Depth=1
	s_or_b64 exec, exec, s[20:21]
	s_trap 2
	ds_read_b32 v0, v0
	v_and_b32_e32 v1, 0x4000, v53
	v_cmp_ne_u32_e32 vcc, 0, v1
	s_and_b64 s[56:57], s[42:43], vcc
	s_and_saveexec_b64 s[20:21], s[56:57]
	s_cbranch_execz .LBB12_1908
; %bb.1890:                             ;   in Loop: Header=BB12_1845 Depth=1
	s_and_saveexec_b64 s[56:57], s[28:29]
	s_xor_b64 s[56:57], exec, s[56:57]
	s_cbranch_execz .LBB12_1905
; %bb.1891:                             ;   in Loop: Header=BB12_1845 Depth=1
	s_and_saveexec_b64 s[58:59], s[12:13]
	s_cbranch_execz .LBB12_1904
; %bb.1892:                             ;   in Loop: Header=BB12_1845 Depth=1
	s_mov_b64 s[62:63], exec
	v_mbcnt_lo_u32_b32 v1, s62, 0
	v_mbcnt_hi_u32_b32 v1, s63, v1
	v_cmp_eq_u32_e32 vcc, 0, v1
	s_waitcnt vmcnt(0) lgkmcnt(0)
	buffer_wbinvl1_vol
	s_and_saveexec_b64 s[60:61], vcc
	s_cbranch_execz .LBB12_1894
; %bb.1893:                             ;   in Loop: Header=BB12_1845 Depth=1
	s_bcnt1_i32_b64 s62, s[62:63]
	v_mov_b32_e32 v39, s62
	ds_add_u64 v0, v[39:40]
	s_trap 2
.LBB12_1894:                            ;   in Loop: Header=BB12_1845 Depth=1
	s_or_b64 exec, exec, s[60:61]
	s_trap 2
	ds_read_b64 v[1:2], v0
	s_waitcnt lgkmcnt(0)
	buffer_load_dword v3, off, s[0:3], s33 offset:160 ; 4-byte Folded Reload
	buffer_load_dword v4, off, s[0:3], s33 offset:164 ; 4-byte Folded Reload
	s_waitcnt vmcnt(1)
	v_add_co_u32_e32 v3, vcc, v3, v54
	s_waitcnt vmcnt(0)
	v_addc_co_u32_e32 v4, vcc, 0, v4, vcc
	buffer_store_dword v3, off, s[0:3], s33 offset:160 ; 4-byte Folded Spill
	s_nop 0
	buffer_store_dword v4, off, s[0:3], s33 offset:164 ; 4-byte Folded Spill
	v_cmp_lt_u64_e32 vcc, v[1:2], v[3:4]
	s_and_saveexec_b64 s[60:61], vcc
	s_cbranch_execz .LBB12_1903
; %bb.1895:                             ;   in Loop: Header=BB12_1845 Depth=1
	s_mov_b32 s90, 0
	s_mov_b64 s[62:63], 0
                                        ; implicit-def: $sgpr72_sgpr73
                                        ; implicit-def: $sgpr74_sgpr75
	s_branch .LBB12_1897
.LBB12_1896:                            ;   in Loop: Header=BB12_1897 Depth=2
	s_or_b64 exec, exec, s[78:79]
	s_and_b64 s[76:77], exec, s[88:89]
	s_or_b64 s[62:63], s[76:77], s[62:63]
	s_andn2_b64 s[72:73], s[72:73], exec
	s_and_b64 s[76:77], s[74:75], exec
	s_or_b64 s[72:73], s[72:73], s[76:77]
	s_andn2_b64 exec, exec, s[62:63]
	s_cbranch_execz .LBB12_1901
.LBB12_1897:                            ;   Parent Loop BB12_1845 Depth=1
                                        ; =>  This Inner Loop Header: Depth=2
	s_add_i32 s90, s90, 1
	s_cmpk_lg_i32 s90, 0x2710
	s_cselect_b64 s[76:77], -1, 0
	s_and_b64 vcc, exec, s[76:77]
	s_cbranch_vccz .LBB12_1899
; %bb.1898:                             ;   in Loop: Header=BB12_1897 Depth=2
	s_mov_b64 s[88:89], -1
	s_or_b64 s[74:75], s[74:75], exec
	s_and_saveexec_b64 s[78:79], s[76:77]
	s_cbranch_execz .LBB12_1896
	s_branch .LBB12_1900
.LBB12_1899:                            ;   in Loop: Header=BB12_1897 Depth=2
	s_trap 2
	ds_read_b64 v[1:2], v0
	s_andn2_b64 s[76:77], s[76:77], exec
	s_mov_b32 s90, 0
	s_waitcnt vmcnt(0) lgkmcnt(0)
	flat_load_dword v1, v[1:2] glc
	s_waitcnt vmcnt(0) lgkmcnt(0)
	buffer_wbinvl1_vol
	v_cmp_eq_u32_e32 vcc, 0, v1
	s_and_b64 s[78:79], vcc, exec
	s_or_b64 s[76:77], s[76:77], s[78:79]
	s_mov_b64 s[88:89], -1
	s_or_b64 s[74:75], s[74:75], exec
	s_and_saveexec_b64 s[78:79], s[76:77]
	s_cbranch_execz .LBB12_1896
.LBB12_1900:                            ;   in Loop: Header=BB12_1897 Depth=2
	s_sleep 1
	s_trap 2
	ds_read_b64 v[1:2], v0
	s_waitcnt lgkmcnt(0)
	buffer_load_dword v3, off, s[0:3], s33 offset:160 ; 4-byte Folded Reload
	buffer_load_dword v4, off, s[0:3], s33 offset:164 ; 4-byte Folded Reload
	s_andn2_b64 s[74:75], s[74:75], exec
	s_waitcnt vmcnt(0)
	v_cmp_ge_u64_e32 vcc, v[1:2], v[3:4]
	s_orn2_b64 s[88:89], vcc, exec
	s_branch .LBB12_1896
.LBB12_1901:                            ;   in Loop: Header=BB12_1845 Depth=1
	s_or_b64 exec, exec, s[62:63]
	s_and_saveexec_b64 s[62:63], s[72:73]
	s_xor_b64 s[62:63], exec, s[62:63]
	s_cbranch_execz .LBB12_1903
; %bb.1902:                             ;   in Loop: Header=BB12_1845 Depth=1
	v_mov_b32_e32 v1, 1
	ds_write_b32 v0, v1
	s_trap 2
.LBB12_1903:                            ;   in Loop: Header=BB12_1845 Depth=1
	s_or_b64 exec, exec, s[60:61]
	;;#ASMSTART
	s_wakeup
	;;#ASMEND
.LBB12_1904:                            ;   in Loop: Header=BB12_1845 Depth=1
	s_or_b64 exec, exec, s[58:59]
.LBB12_1905:                            ;   in Loop: Header=BB12_1845 Depth=1
	s_andn2_saveexec_b64 s[56:57], s[56:57]
	s_cbranch_execz .LBB12_1907
; %bb.1906:                             ;   in Loop: Header=BB12_1845 Depth=1
	s_waitcnt vmcnt(0) lgkmcnt(0)
	buffer_wbinvl1_vol
	s_barrier
.LBB12_1907:                            ;   in Loop: Header=BB12_1845 Depth=1
	s_or_b64 exec, exec, s[56:57]
.LBB12_1908:                            ;   in Loop: Header=BB12_1845 Depth=1
	s_or_b64 exec, exec, s[20:21]
	s_trap 2
	s_waitcnt lgkmcnt(0)
	ds_read_b64 v[1:2], v0
	s_waitcnt lgkmcnt(0)
	buffer_store_dword v1, off, s[0:3], s33 offset:304 ; 4-byte Folded Spill
	s_nop 0
	buffer_store_dword v2, off, s[0:3], s33 offset:308 ; 4-byte Folded Spill
	v_cmp_eq_u64_e32 vcc, 0, v[1:2]
	s_cbranch_vccnz .LBB12_1916
; %bb.1909:                             ;   in Loop: Header=BB12_1845 Depth=1
	s_trap 2
	ds_read_b64 v[22:23], v0
	s_waitcnt lgkmcnt(0)
	v_cmp_eq_u64_e32 vcc, 0, v[22:23]
	s_cbranch_vccnz .LBB12_1916
; %bb.1910:                             ;   in Loop: Header=BB12_1845 Depth=1
	s_mov_b64 s[56:57], -1
	s_and_saveexec_b64 s[20:21], s[14:15]
	s_cbranch_execz .LBB12_1912
; %bb.1911:                             ;   in Loop: Header=BB12_1845 Depth=1
	ds_read_b32 v1, v0 offset:720
	s_waitcnt lgkmcnt(0)
	v_and_b32_e32 v1, 15, v1
	v_cmp_eq_u32_e32 vcc, 0, v1
	s_orn2_b64 s[56:57], vcc, exec
.LBB12_1912:                            ;   in Loop: Header=BB12_1845 Depth=1
	s_or_b64 exec, exec, s[20:21]
	s_and_saveexec_b64 s[20:21], s[16:17]
	s_cbranch_execz .LBB12_1914
; %bb.1913:                             ;   in Loop: Header=BB12_1845 Depth=1
	ds_read_b32 v1, v0 offset:784
	s_waitcnt lgkmcnt(0)
	v_and_b32_e32 v1, 15, v1
	v_cmp_eq_u32_e32 vcc, 0, v1
	s_and_b64 s[58:59], s[56:57], vcc
	s_andn2_b64 s[56:57], s[56:57], exec
	s_and_b64 s[58:59], s[58:59], exec
	s_or_b64 s[56:57], s[56:57], s[58:59]
.LBB12_1914:                            ;   in Loop: Header=BB12_1845 Depth=1
	s_or_b64 exec, exec, s[20:21]
	s_xor_b64 s[56:57], s[56:57], -1
	v_cmp_eq_u32_e64 s[20:21], 0, v0
	v_cndmask_b32_e64 v0, 0, 1, s[56:57]
	s_mov_b64 s[58:59], -1
	v_cmp_ne_u32_e32 vcc, 0, v0
	buffer_store_dword v10, off, s[0:3], s33 offset:312 ; 4-byte Folded Spill
	s_nop 0
	buffer_store_dword v11, off, s[0:3], s33 offset:316 ; 4-byte Folded Spill
	s_cbranch_vccz .LBB12_1917
; %bb.1915:                             ;   in Loop: Header=BB12_1845 Depth=1
	s_mov_b64 s[58:59], 0
	s_mov_b64 s[56:57], -1
	s_branch .LBB12_1918
.LBB12_1916:                            ;   in Loop: Header=BB12_1845 Depth=1
	s_mov_b64 s[20:21], 0
	s_and_saveexec_b64 s[56:57], s[10:11]
	s_cbranch_execnz .LBB12_1968
	s_branch .LBB12_1986
.LBB12_1917:                            ;   in Loop: Header=BB12_1845 Depth=1
	s_mov_b64 s[56:57], 0
.LBB12_1918:                            ;   in Loop: Header=BB12_1845 Depth=1
	v_cndmask_b32_e64 v41, 0, v43, s[20:21]
	v_lshlrev_b32_e32 v26, 1, v41
	s_andn2_b64 vcc, exec, s[58:59]
	v_mov_b32_e32 v6, 0
	s_cbranch_vccnz .LBB12_1926
; %bb.1919:                             ;   in Loop: Header=BB12_1845 Depth=1
	buffer_store_dword v26, off, s[0:3], s33 offset:356 ; 4-byte Folded Spill
	buffer_store_dword v43, off, s[0:3], s33 offset:340 ; 4-byte Folded Spill
	;; [unrolled: 1-line block ×3, first 2 shown]
	s_nop 0
	buffer_store_dword v43, off, s[0:3], s33 offset:336 ; 4-byte Folded Spill
	buffer_store_dword v41, off, s[0:3], s33 offset:344 ; 4-byte Folded Spill
	buffer_load_dword v0, off, s[0:3], s33 offset:328 ; 4-byte Folded Reload
	buffer_load_dword v1, off, s[0:3], s33 offset:368 ; 4-byte Folded Reload
	v_lshrrev_b32_e32 v4, 12, v41
	s_mov_b64 s[58:59], 0
                                        ; implicit-def: $vgpr5_vgpr6
                                        ; implicit-def: $vgpr14_vgpr15
                                        ; implicit-def: $vgpr27_vgpr28
                                        ; implicit-def: $vgpr31_vgpr32
	s_waitcnt vmcnt(1)
	v_sub_u32_e32 v10, v4, v0
	buffer_load_dword v0, off, s[0:3], s33 offset:364 ; 4-byte Folded Reload
	s_waitcnt vmcnt(0)
	v_add_co_u32_e32 v0, vcc, v22, v0
	buffer_store_dword v22, off, s[0:3], s33 offset:348 ; 4-byte Folded Spill
	s_nop 0
	buffer_store_dword v23, off, s[0:3], s33 offset:352 ; 4-byte Folded Spill
	buffer_store_dword v5, off, s[0:3], s33 offset:200 ; 4-byte Folded Spill
	s_nop 0
	buffer_store_dword v6, off, s[0:3], s33 offset:204 ; 4-byte Folded Spill
	buffer_store_dword v7, off, s[0:3], s33 offset:208 ; 4-byte Folded Spill
	;; [unrolled: 1-line block ×3, first 2 shown]
                                        ; implicit-def: $vgpr5_vgpr6
	buffer_store_dword v5, off, s[0:3], s33 offset:216 ; 4-byte Folded Spill
	s_nop 0
	buffer_store_dword v6, off, s[0:3], s33 offset:220 ; 4-byte Folded Spill
	buffer_store_dword v7, off, s[0:3], s33 offset:224 ; 4-byte Folded Spill
	;; [unrolled: 1-line block ×3, first 2 shown]
                                        ; implicit-def: $vgpr5_vgpr6
	buffer_store_dword v5, off, s[0:3], s33 offset:232 ; 4-byte Folded Spill
	s_nop 0
	buffer_store_dword v6, off, s[0:3], s33 offset:236 ; 4-byte Folded Spill
	buffer_store_dword v7, off, s[0:3], s33 offset:240 ; 4-byte Folded Spill
	;; [unrolled: 1-line block ×3, first 2 shown]
                                        ; implicit-def: $vgpr19_vgpr20
	v_addc_co_u32_e32 v1, vcc, v23, v1, vcc
	v_cmp_lt_i32_e32 vcc, 0, v10
                                        ; implicit-def: $vgpr23_vgpr24
	s_and_saveexec_b64 s[20:21], vcc
	s_cbranch_execz .LBB12_1928
; %bb.1920:                             ;   in Loop: Header=BB12_1845 Depth=1
	buffer_store_dword v4, off, s[0:3], s33 offset:392 ; 4-byte Folded Spill
	buffer_store_dword v39, off, s[0:3], s33 offset:384 ; 4-byte Folded Spill
	s_nop 0
	buffer_store_dword v40, off, s[0:3], s33 offset:388 ; 4-byte Folded Spill
	buffer_store_dword v53, off, s[0:3], s33 offset:456 ; 4-byte Folded Spill
	buffer_load_dword v42, off, s[0:3], s33 offset:364 ; 4-byte Folded Reload
	buffer_load_dword v2, off, s[0:3], s33 offset:304 ; 4-byte Folded Reload
	;; [unrolled: 1-line block ×4, first 2 shown]
	v_mov_b32_e32 v60, v54
	s_mov_b64 s[62:63], 0
                                        ; implicit-def: $sgpr60_sgpr61
                                        ; implicit-def: $vgpr14_vgpr15
                                        ; implicit-def: $vgpr23_vgpr24
                                        ; implicit-def: $vgpr27_vgpr28
                                        ; implicit-def: $vgpr19_vgpr20
                                        ; implicit-def: $vgpr31_vgpr32
	s_waitcnt vmcnt(2)
	v_add_co_u32_e32 v61, vcc, v2, v42
	s_waitcnt vmcnt(0)
	v_addc_co_u32_e32 v62, vcc, v3, v43, vcc
                                        ; implicit-def: $vgpr2_vgpr3
	buffer_store_dword v2, off, s[0:3], s33 offset:200 ; 4-byte Folded Spill
	s_nop 0
	buffer_store_dword v3, off, s[0:3], s33 offset:204 ; 4-byte Folded Spill
	buffer_store_dword v4, off, s[0:3], s33 offset:208 ; 4-byte Folded Spill
	buffer_store_dword v5, off, s[0:3], s33 offset:212 ; 4-byte Folded Spill
                                        ; implicit-def: $vgpr2_vgpr3
	buffer_store_dword v2, off, s[0:3], s33 offset:216 ; 4-byte Folded Spill
	s_nop 0
	buffer_store_dword v3, off, s[0:3], s33 offset:220 ; 4-byte Folded Spill
	buffer_store_dword v4, off, s[0:3], s33 offset:224 ; 4-byte Folded Spill
	buffer_store_dword v5, off, s[0:3], s33 offset:228 ; 4-byte Folded Spill
	;; [unrolled: 6-line block ×3, first 2 shown]
	s_branch .LBB12_1922
.LBB12_1921:                            ;   in Loop: Header=BB12_1922 Depth=2
	s_or_b64 exec, exec, s[72:73]
	global_store_dwordx4 v[0:1], v[35:38], off glc slc
	global_store_dwordx4 v[0:1], v[48:51], off offset:1024 glc slc
	global_store_dwordx4 v[0:1], v[52:55], off offset:2048 glc slc
	;; [unrolled: 1-line block ×3, first 2 shown]
	v_add_co_u32_e32 v36, vcc, s31, v0
	v_addc_co_u32_e32 v37, vcc, 0, v1, vcc
	s_waitcnt vmcnt(5)
	v_add_co_u32_e32 v0, vcc, v0, v10
	s_waitcnt vmcnt(4)
	v_addc_co_u32_e32 v1, vcc, v1, v11, vcc
	v_add_co_u32_e32 v0, vcc, s95, v0
	v_addc_co_u32_e32 v1, vcc, 0, v1, vcc
	v_add_co_u32_e32 v61, vcc, v61, v10
	v_addc_co_u32_e32 v62, vcc, v62, v11, vcc
	v_sub_u32_e32 v10, v12, v13
	v_cmp_gt_i32_e32 vcc, 1, v10
	s_or_b64 s[58:59], vcc, s[58:59]
	s_andn2_b64 s[60:61], s[60:61], exec
	s_and_b64 s[72:73], s[62:63], exec
	s_or_b64 s[60:61], s[60:61], s[72:73]
	global_store_dwordx4 v[36:37], v[43:46], off glc slc
	global_store_dwordx4 v[36:37], v[56:59], off offset:1024 glc slc
	global_store_dwordx4 v[36:37], v[2:5], off offset:2048 glc slc
	;; [unrolled: 1-line block ×3, first 2 shown]
	s_andn2_b64 exec, exec, s[58:59]
	s_cbranch_execz .LBB12_1927
.LBB12_1922:                            ;   Parent Loop BB12_1845 Depth=1
                                        ; =>  This Inner Loop Header: Depth=2
	v_add_co_u32_e32 v6, vcc, 0x1000, v61
	v_addc_co_u32_e32 v7, vcc, 0, v62, vcc
	global_load_dwordx4 v[35:38], v[61:62], off glc slc
	global_load_dwordx4 v[48:51], v[61:62], off offset:1024 glc slc
	global_load_dwordx4 v[52:55], v[61:62], off offset:2048 glc slc
	;; [unrolled: 1-line block ×3, first 2 shown]
	global_load_dwordx4 v[43:46], v[6:7], off glc slc
	global_load_dwordx4 v[56:59], v[6:7], off offset:1024 glc slc
	global_load_dwordx4 v[2:5], v[6:7], off offset:2048 glc slc
	s_nop 0
	global_load_dwordx4 v[6:9], v[6:7], off offset:3072 glc slc
	s_and_saveexec_b64 s[72:73], s[62:63]
	s_cbranch_execz .LBB12_1924
; %bb.1923:                             ;   in Loop: Header=BB12_1922 Depth=2
	s_waitcnt vmcnt(2)
	buffer_store_dword v56, off, s[0:3], s33 offset:248 ; 4-byte Folded Spill
	s_nop 0
	buffer_store_dword v57, off, s[0:3], s33 offset:252 ; 4-byte Folded Spill
	buffer_store_dword v58, off, s[0:3], s33 offset:256 ; 4-byte Folded Spill
	;; [unrolled: 1-line block ×3, first 2 shown]
	v_mov_b32_e32 v59, v46
	v_mov_b32_e32 v58, v45
	;; [unrolled: 1-line block ×20, first 2 shown]
	s_waitcnt vmcnt(4)
	v_mov_b32_e32 v39, v9
	v_mov_b32_e32 v38, v8
	;; [unrolled: 1-line block ×20, first 2 shown]
	buffer_load_dword v11, off, s[0:3], s33 offset:200 ; 4-byte Folded Reload
	buffer_load_dword v12, off, s[0:3], s33 offset:204 ; 4-byte Folded Reload
	;; [unrolled: 1-line block ×4, first 2 shown]
	v_mov_b32_e32 v15, v19
	v_mov_b32_e32 v16, v20
	;; [unrolled: 1-line block ×4, first 2 shown]
	s_waitcnt vmcnt(0)
	global_store_dwordx4 v[0:1], v[11:14], off glc slc
	buffer_load_dword v11, off, s[0:3], s33 offset:216 ; 4-byte Folded Reload
	s_nop 0
	buffer_load_dword v12, off, s[0:3], s33 offset:220 ; 4-byte Folded Reload
	buffer_load_dword v13, off, s[0:3], s33 offset:224 ; 4-byte Folded Reload
	;; [unrolled: 1-line block ×7, first 2 shown]
	s_waitcnt vmcnt(4)
	global_store_dwordx4 v[0:1], v[11:14], off offset:1024 glc slc
	s_waitcnt vmcnt(1)
	global_store_dwordx4 v[0:1], v[19:22], off offset:2048 glc slc
	s_nop 0
	v_mov_b32_e32 v22, v18
	v_mov_b32_e32 v21, v17
	;; [unrolled: 1-line block ×5, first 2 shown]
	v_add_co_u32_e32 v11, vcc, 0x1000, v0
	v_mov_b32_e32 v15, v24
	v_mov_b32_e32 v16, v25
	;; [unrolled: 1-line block ×3, first 2 shown]
	global_store_dwordx4 v[0:1], v[23:26], off offset:3072 glc slc
	v_addc_co_u32_e32 v12, vcc, 0, v1, vcc
	v_mov_b32_e32 v23, v32
	v_mov_b32_e32 v24, v33
	;; [unrolled: 1-line block ×4, first 2 shown]
	global_store_dwordx4 v[11:12], v[32:35], off glc slc
	s_nop 0
	v_mov_b32_e32 v34, v5
	v_mov_b32_e32 v33, v4
	;; [unrolled: 1-line block ×32, first 2 shown]
	buffer_load_dword v56, off, s[0:3], s33 offset:248 ; 4-byte Folded Reload
	buffer_load_dword v57, off, s[0:3], s33 offset:252 ; 4-byte Folded Reload
	;; [unrolled: 1-line block ×4, first 2 shown]
	s_nop 0
	global_store_dwordx4 v[11:12], v[27:30], off offset:1024 glc slc
	global_store_dwordx4 v[11:12], v[19:22], off offset:2048 glc slc
	;; [unrolled: 1-line block ×3, first 2 shown]
	buffer_load_dword v11, off, s[0:3], s33 offset:168 ; 4-byte Folded Reload
	s_waitcnt vmcnt(0)
	v_add_co_u32_e32 v0, vcc, v0, v11
	buffer_load_dword v11, off, s[0:3], s33 offset:184 ; 4-byte Folded Reload
	s_waitcnt vmcnt(0)
	v_addc_co_u32_e32 v1, vcc, v1, v11, vcc
.LBB12_1924:                            ;   in Loop: Header=BB12_1922 Depth=2
	s_or_b64 exec, exec, s[72:73]
	buffer_load_dword v11, off, s[0:3], s33 offset:168 ; 4-byte Folded Reload
	v_sub_u32_e32 v12, v10, v60
	v_mov_b32_e32 v13, 0
	v_cmp_lt_i32_e64 s[62:63], 0, v12
	s_waitcnt vmcnt(0)
	v_add_co_u32_e32 v61, vcc, v61, v11
	buffer_load_dword v11, off, s[0:3], s33 offset:184 ; 4-byte Folded Reload
	s_waitcnt vmcnt(0)
	v_addc_co_u32_e32 v62, vcc, v62, v11, vcc
	v_mov_b32_e32 v10, 0
	v_mov_b32_e32 v11, 0
	s_and_saveexec_b64 s[72:73], s[62:63]
	s_cbranch_execz .LBB12_1921
; %bb.1925:                             ;   in Loop: Header=BB12_1922 Depth=2
	global_load_dwordx4 v[13:16], v[61:62], off glc slc
	v_add_co_u32_e32 v10, vcc, s31, v61
	v_addc_co_u32_e32 v11, vcc, 0, v62, vcc
	s_waitcnt vmcnt(0)
	buffer_store_dword v13, off, s[0:3], s33 offset:200 ; 4-byte Folded Spill
	s_nop 0
	buffer_store_dword v14, off, s[0:3], s33 offset:204 ; 4-byte Folded Spill
	buffer_store_dword v15, off, s[0:3], s33 offset:208 ; 4-byte Folded Spill
	buffer_store_dword v16, off, s[0:3], s33 offset:212 ; 4-byte Folded Spill
	global_load_dwordx4 v[13:16], v[61:62], off offset:1024 glc slc
	s_waitcnt vmcnt(0)
	buffer_store_dword v13, off, s[0:3], s33 offset:216 ; 4-byte Folded Spill
	s_nop 0
	buffer_store_dword v14, off, s[0:3], s33 offset:220 ; 4-byte Folded Spill
	buffer_store_dword v15, off, s[0:3], s33 offset:224 ; 4-byte Folded Spill
	buffer_store_dword v16, off, s[0:3], s33 offset:228 ; 4-byte Folded Spill
	global_load_dwordx4 v[13:16], v[61:62], off offset:2048 glc slc
	;; [unrolled: 7-line block ×3, first 2 shown]
	s_nop 0
	global_load_dwordx4 v[23:26], v[10:11], off glc slc
	global_load_dwordx4 v[27:30], v[10:11], off offset:1024 glc slc
	global_load_dwordx4 v[19:22], v[10:11], off offset:2048 glc slc
	;; [unrolled: 1-line block ×3, first 2 shown]
	s_nop 0
	buffer_load_dword v10, off, s[0:3], s33 offset:288 ; 4-byte Folded Reload
	buffer_load_dword v11, off, s[0:3], s33 offset:292 ; 4-byte Folded Reload
	v_add_co_u32_e32 v61, vcc, 0x2000, v61
	v_addc_co_u32_e32 v62, vcc, 0, v62, vcc
	v_mov_b32_e32 v13, v60
	s_branch .LBB12_1921
.LBB12_1926:                            ;   in Loop: Header=BB12_1845 Depth=1
	buffer_load_dword v7, off, s[0:3], s33 offset:360 ; 4-byte Folded Reload
	buffer_load_dword v0, off, s[0:3], s33 offset:328 ; 4-byte Folded Reload
	s_and_saveexec_b64 s[20:21], s[56:57]
	s_cbranch_execnz .LBB12_1947
	s_branch .LBB12_1967
.LBB12_1927:                            ;   in Loop: Header=BB12_1845 Depth=1
	s_or_b64 exec, exec, s[58:59]
	buffer_load_dword v53, off, s[0:3], s33 offset:456 ; 4-byte Folded Reload
	v_mov_b32_e32 v54, v60
	buffer_load_dword v39, off, s[0:3], s33 offset:384 ; 4-byte Folded Reload
	buffer_load_dword v40, off, s[0:3], s33 offset:388 ; 4-byte Folded Reload
	;; [unrolled: 1-line block ×12, first 2 shown]
	s_and_b64 s[58:59], s[60:61], exec
.LBB12_1928:                            ;   in Loop: Header=BB12_1845 Depth=1
	s_or_b64 exec, exec, s[20:21]
	s_and_saveexec_b64 s[20:21], s[58:59]
	s_cbranch_execz .LBB12_1930
; %bb.1929:                             ;   in Loop: Header=BB12_1845 Depth=1
	buffer_load_dword v5, off, s[0:3], s33 offset:200 ; 4-byte Folded Reload
	buffer_load_dword v6, off, s[0:3], s33 offset:204 ; 4-byte Folded Reload
	;; [unrolled: 1-line block ×4, first 2 shown]
	s_waitcnt vmcnt(0)
	global_store_dwordx4 v[0:1], v[5:8], off glc slc
	buffer_load_dword v5, off, s[0:3], s33 offset:216 ; 4-byte Folded Reload
	s_nop 0
	buffer_load_dword v6, off, s[0:3], s33 offset:220 ; 4-byte Folded Reload
	buffer_load_dword v7, off, s[0:3], s33 offset:224 ; 4-byte Folded Reload
	;; [unrolled: 1-line block ×3, first 2 shown]
	s_waitcnt vmcnt(0)
	global_store_dwordx4 v[0:1], v[5:8], off offset:1024 glc slc
	buffer_load_dword v5, off, s[0:3], s33 offset:232 ; 4-byte Folded Reload
	s_nop 0
	buffer_load_dword v6, off, s[0:3], s33 offset:236 ; 4-byte Folded Reload
	buffer_load_dword v7, off, s[0:3], s33 offset:240 ; 4-byte Folded Reload
	;; [unrolled: 1-line block ×3, first 2 shown]
	s_waitcnt vmcnt(0)
	global_store_dwordx4 v[0:1], v[5:8], off offset:2048 glc slc
	global_store_dwordx4 v[0:1], v[14:17], off offset:3072 glc slc
	v_add_co_u32_e32 v0, vcc, 0x1000, v0
	v_addc_co_u32_e32 v1, vcc, 0, v1, vcc
	global_store_dwordx4 v[0:1], v[23:26], off glc slc
	global_store_dwordx4 v[0:1], v[27:30], off offset:1024 glc slc
	global_store_dwordx4 v[0:1], v[19:22], off offset:2048 glc slc
	;; [unrolled: 1-line block ×3, first 2 shown]
.LBB12_1930:                            ;   in Loop: Header=BB12_1845 Depth=1
	s_or_b64 exec, exec, s[20:21]
	buffer_load_dword v26, off, s[0:3], s33 offset:356 ; 4-byte Folded Reload
	s_waitcnt vmcnt(1)
	v_lshlrev_b32_e32 v14, 13, v4
                                        ; implicit-def: $vgpr6
                                        ; implicit-def: $vgpr7
                                        ; implicit-def: $vgpr0
	s_waitcnt vmcnt(0)
	v_cmp_ne_u32_e32 vcc, v26, v14
	s_mov_b64 s[58:59], exec
	buffer_load_dword v42, off, s[0:3], s33 offset:332 ; 4-byte Folded Reload
	buffer_load_dword v43, off, s[0:3], s33 offset:336 ; 4-byte Folded Reload
	;; [unrolled: 1-line block ×5, first 2 shown]
	s_and_b64 s[20:21], s[58:59], vcc
	s_mov_b64 exec, s[20:21]
	s_cbranch_execz .LBB12_1946
; %bb.1931:                             ;   in Loop: Header=BB12_1845 Depth=1
	buffer_load_dword v2, off, s[0:3], s33 offset:360 ; 4-byte Folded Reload
	v_lshlrev_b32_e32 v1, 6, v10
	v_sub_u32_e32 v0, v26, v14
	s_mov_b64 s[62:63], 0
	s_waitcnt vmcnt(0)
	v_sub_u32_e32 v1, v2, v1
	v_ashrrev_i32_e32 v2, 31, v1
	v_lshrrev_b32_e32 v2, 26, v2
	v_add_u32_e32 v2, v1, v2
	v_ashrrev_i32_e32 v3, 6, v2
	v_and_b32_e32 v2, 0xffffffc0, v2
	v_sub_u32_e32 v15, v1, v2
	v_lshlrev_b32_e32 v1, 4, v15
	v_lshl_add_u32 v1, v3, 10, v1
	v_add_u32_e32 v4, v1, v14
	v_sub_u32_e32 v19, v0, v1
	v_ashrrev_i32_e32 v1, 31, v0
	v_lshrrev_b32_e32 v1, 22, v1
	v_add_u32_e32 v1, v0, v1
	v_and_b32_e32 v16, 0xfffffc00, v1
	v_sub_u32_e32 v18, v0, v16
	v_ashrrev_i32_e32 v2, 10, v1
	v_cmp_lt_i32_e64 s[20:21], 15, v18
	v_addc_co_u32_e64 v0, vcc, 0, v2, s[20:21]
	v_sub_u32_e32 v17, v0, v3
	v_ashrrev_i32_e32 v5, 31, v4
	v_add_co_u32_e32 v0, vcc, v4, v22
	v_addc_co_u32_e32 v1, vcc, v5, v23, vcc
	v_cmp_lt_i32_e32 vcc, 15, v19
                                        ; implicit-def: $vgpr2_vgpr3
	s_and_saveexec_b64 s[60:61], vcc
	s_cbranch_execz .LBB12_1941
; %bb.1932:                             ;   in Loop: Header=BB12_1845 Depth=1
	buffer_load_dword v2, off, s[0:3], s33 offset:304 ; 4-byte Folded Reload
	buffer_load_dword v3, off, s[0:3], s33 offset:308 ; 4-byte Folded Reload
	s_mov_b64 s[74:75], 0
                                        ; implicit-def: $sgpr72_sgpr73
	s_waitcnt vmcnt(1)
	v_add_co_u32_e32 v10, vcc, v4, v2
	s_waitcnt vmcnt(0)
	v_addc_co_u32_e32 v11, vcc, v5, v3, vcc
                                        ; implicit-def: $vgpr2_vgpr3
	s_branch .LBB12_1934
.LBB12_1933:                            ;   in Loop: Header=BB12_1934 Depth=2
	s_or_b64 exec, exec, s[76:77]
	v_cmp_gt_i32_e32 vcc, 16, v19
	s_or_b64 s[62:63], vcc, s[62:63]
	s_andn2_b64 s[72:73], s[72:73], exec
	s_and_b64 s[76:77], s[74:75], exec
	s_or_b64 s[72:73], s[72:73], s[76:77]
	s_andn2_b64 exec, exec, s[62:63]
	s_cbranch_execz .LBB12_1940
.LBB12_1934:                            ;   Parent Loop BB12_1845 Depth=1
                                        ; =>  This Inner Loop Header: Depth=2
	global_load_dwordx4 v[6:9], v[10:11], off glc slc
	s_and_saveexec_b64 s[76:77], s[74:75]
	s_cbranch_execz .LBB12_1936
; %bb.1935:                             ;   in Loop: Header=BB12_1934 Depth=2
	v_add_co_u32_e32 v12, vcc, v0, v47
	v_addc_co_u32_e32 v13, vcc, v1, v56, vcc
	global_store_dwordx4 v[0:1], v[2:5], off glc slc
	v_mov_b32_e32 v0, v12
	v_mov_b32_e32 v1, v13
.LBB12_1936:                            ;   in Loop: Header=BB12_1934 Depth=2
	s_or_b64 exec, exec, s[76:77]
	v_add_co_u32_e32 v10, vcc, v10, v47
	v_sub_u32_e32 v19, v19, v44
	v_addc_co_u32_e32 v11, vcc, v11, v56, vcc
	v_cmp_lt_i32_e64 s[74:75], 15, v19
	s_and_saveexec_b64 s[76:77], s[74:75]
	s_cbranch_execz .LBB12_1938
; %bb.1937:                             ;   in Loop: Header=BB12_1934 Depth=2
	global_load_dwordx4 v[2:5], v[10:11], off glc slc
	v_add_co_u32_e32 v10, vcc, 0x400, v10
	v_addc_co_u32_e32 v11, vcc, 0, v11, vcc
.LBB12_1938:                            ;   in Loop: Header=BB12_1934 Depth=2
	s_or_b64 exec, exec, s[76:77]
	s_waitcnt vmcnt(0)
	global_store_dwordx4 v[0:1], v[6:9], off glc slc
	v_add_co_u32_e32 v0, vcc, 0x400, v0
	v_sub_u32_e32 v17, v17, v54
	v_addc_co_u32_e32 v1, vcc, 0, v1, vcc
	s_and_saveexec_b64 s[76:77], s[74:75]
	s_cbranch_execz .LBB12_1933
; %bb.1939:                             ;   in Loop: Header=BB12_1934 Depth=2
	v_add_co_u32_e32 v10, vcc, v10, v57
	v_addc_co_u32_e32 v11, vcc, v11, v55, vcc
	v_add_co_u32_e32 v0, vcc, v0, v57
	v_sub_u32_e32 v17, v17, v54
	v_sub_u32_e32 v19, v19, v44
	v_addc_co_u32_e32 v1, vcc, v1, v55, vcc
	s_branch .LBB12_1933
.LBB12_1940:                            ;   in Loop: Header=BB12_1845 Depth=1
	s_or_b64 exec, exec, s[62:63]
	s_and_b64 s[62:63], s[72:73], exec
.LBB12_1941:                            ;   in Loop: Header=BB12_1845 Depth=1
	s_or_b64 exec, exec, s[60:61]
	s_and_saveexec_b64 s[60:61], s[62:63]
	s_cbranch_execz .LBB12_1943
; %bb.1942:                             ;   in Loop: Header=BB12_1845 Depth=1
	global_store_dwordx4 v[0:1], v[2:5], off glc slc
.LBB12_1943:                            ;   in Loop: Header=BB12_1845 Depth=1
	s_or_b64 exec, exec, s[60:61]
	v_and_b32_e32 v1, 14, v26
	v_cndmask_b32_e64 v26, v18, v1, s[20:21]
	v_cmp_ne_u32_e32 vcc, 0, v26
	s_mov_b64 s[62:63], s[56:57]
                                        ; implicit-def: $vgpr6
                                        ; implicit-def: $vgpr7
                                        ; implicit-def: $vgpr0
	s_and_saveexec_b64 s[60:61], vcc
	s_cbranch_execz .LBB12_1945
; %bb.1944:                             ;   in Loop: Header=BB12_1845 Depth=1
	v_sub_u32_e32 v0, v18, v1
	v_cndmask_b32_e64 v0, 0, v0, s[20:21]
	v_cmp_lt_i32_e32 vcc, 0, v17
	v_add3_u32 v6, v16, v14, v0
	v_cndmask_b32_e32 v0, 0, v54, vcc
	v_sub_u32_e32 v0, v0, v17
	v_lshl_add_u32 v1, v0, 6, v15
	v_ashrrev_i32_e32 v0, 31, v1
	v_lshrrev_b32_e32 v0, 26, v0
	v_add_u32_e32 v2, v1, v0
	v_ashrrev_i32_e32 v0, 6, v2
	v_and_b32_e32 v2, 0xffffffc0, v2
	v_sub_u32_e32 v7, v1, v2
	s_or_b64 s[62:63], s[56:57], exec
.LBB12_1945:                            ;   in Loop: Header=BB12_1845 Depth=1
	s_or_b64 exec, exec, s[60:61]
	s_andn2_b64 s[20:21], s[56:57], exec
	s_and_b64 s[56:57], s[62:63], exec
	s_or_b64 s[56:57], s[20:21], s[56:57]
.LBB12_1946:                            ;   in Loop: Header=BB12_1845 Depth=1
	s_or_b64 exec, exec, s[58:59]
	buffer_load_dword v43, off, s[0:3], s33 offset:340 ; 4-byte Folded Reload
	s_and_saveexec_b64 s[20:21], s[56:57]
	s_cbranch_execz .LBB12_1967
.LBB12_1947:                            ;   in Loop: Header=BB12_1845 Depth=1
	s_waitcnt vmcnt(0)
	v_lshlrev_b32_e32 v1, 11, v0
	v_lshlrev_b32_e32 v2, 1, v7
	v_add3_u32 v2, v6, v2, v1
	v_ashrrev_i32_e32 v1, 31, v26
	v_lshrrev_b32_e32 v1, 21, v1
	v_add_u32_e32 v1, v26, v1
	v_ashrrev_i32_e32 v8, 11, v1
	v_sub_u32_e32 v4, v8, v0
	v_ashrrev_i32_e32 v3, 31, v2
	v_add_co_u32_e32 v0, vcc, v22, v2
	v_mov_b32_e32 v46, v23
	v_addc_co_u32_e32 v1, vcc, v23, v3, vcc
	v_mov_b32_e32 v58, v26
	v_mov_b32_e32 v45, v22
	v_cmp_lt_i32_e32 vcc, 0, v4
	s_mov_b64 s[58:59], 0
                                        ; implicit-def: $vgpr9
                                        ; implicit-def: $vgpr10
                                        ; implicit-def: $vgpr11
                                        ; implicit-def: $vgpr14
                                        ; implicit-def: $vgpr15
                                        ; implicit-def: $vgpr16
                                        ; implicit-def: $vgpr17
                                        ; implicit-def: $vgpr18
                                        ; implicit-def: $vgpr19
                                        ; implicit-def: $vgpr20
                                        ; implicit-def: $vgpr21
                                        ; implicit-def: $vgpr22
                                        ; implicit-def: $vgpr23
                                        ; implicit-def: $vgpr24
                                        ; implicit-def: $vgpr25
                                        ; implicit-def: $vgpr26
	s_and_saveexec_b64 s[56:57], vcc
	s_cbranch_execz .LBB12_1955
; %bb.1948:                             ;   in Loop: Header=BB12_1845 Depth=1
	buffer_load_dword v9, off, s[0:3], s33 offset:304 ; 4-byte Folded Reload
	buffer_load_dword v10, off, s[0:3], s33 offset:308 ; 4-byte Folded Reload
	s_mov_b64 s[62:63], 0
                                        ; implicit-def: $sgpr60_sgpr61
                                        ; implicit-def: $vgpr11
                                        ; implicit-def: $vgpr14
                                        ; implicit-def: $vgpr15
                                        ; implicit-def: $vgpr16
                                        ; implicit-def: $vgpr17
                                        ; implicit-def: $vgpr18
                                        ; implicit-def: $vgpr19
                                        ; implicit-def: $vgpr20
                                        ; implicit-def: $vgpr21
                                        ; implicit-def: $vgpr22
                                        ; implicit-def: $vgpr23
                                        ; implicit-def: $vgpr24
                                        ; implicit-def: $vgpr25
                                        ; implicit-def: $vgpr26
	s_waitcnt vmcnt(1)
	v_add_co_u32_e32 v2, vcc, v2, v9
	s_waitcnt vmcnt(0)
	v_addc_co_u32_e32 v3, vcc, v3, v10, vcc
                                        ; implicit-def: $vgpr9
                                        ; implicit-def: $vgpr10
	s_branch .LBB12_1950
.LBB12_1949:                            ;   in Loop: Header=BB12_1950 Depth=2
	s_or_b64 exec, exec, s[72:73]
	s_waitcnt vmcnt(0) lgkmcnt(0)
	flat_store_short v[0:1], v12 glc slc
	flat_store_short v[0:1], v27 offset:128 glc slc
	flat_store_short v[0:1], v28 offset:256 glc slc
	;; [unrolled: 1-line block ×15, first 2 shown]
	v_add_co_u32_e32 v0, vcc, v0, v4
	v_addc_co_u32_e32 v1, vcc, v1, v5, vcc
	v_add_co_u32_e32 v0, vcc, s30, v0
	v_addc_co_u32_e32 v1, vcc, 0, v1, vcc
	;; [unrolled: 2-line block ×3, first 2 shown]
	v_sub_u32_e32 v4, v52, v13
	v_cmp_gt_i32_e32 vcc, 1, v4
	s_or_b64 s[58:59], vcc, s[58:59]
	s_andn2_b64 s[60:61], s[60:61], exec
	s_and_b64 s[72:73], s[62:63], exec
	s_or_b64 s[60:61], s[60:61], s[72:73]
	s_andn2_b64 exec, exec, s[58:59]
	s_cbranch_execz .LBB12_1954
.LBB12_1950:                            ;   Parent Loop BB12_1845 Depth=1
                                        ; =>  This Inner Loop Header: Depth=2
	flat_load_ushort v12, v[2:3] glc slc
	flat_load_ushort v27, v[2:3] offset:128 glc slc
	flat_load_ushort v28, v[2:3] offset:256 glc slc
	;; [unrolled: 1-line block ×15, first 2 shown]
	s_and_saveexec_b64 s[72:73], s[62:63]
	s_cbranch_execz .LBB12_1952
; %bb.1951:                             ;   in Loop: Header=BB12_1950 Depth=2
	flat_store_short v[0:1], v9 glc slc
	flat_store_short v[0:1], v10 offset:128 glc slc
	flat_store_short v[0:1], v11 offset:256 glc slc
	;; [unrolled: 1-line block ×15, first 2 shown]
	v_add_co_u32_e32 v0, vcc, v0, v59
	v_addc_co_u32_e32 v1, vcc, v1, v60, vcc
.LBB12_1952:                            ;   in Loop: Header=BB12_1950 Depth=2
	s_or_b64 exec, exec, s[72:73]
	v_add_co_u32_e32 v2, vcc, v2, v59
	v_sub_u32_e32 v52, v4, v54
	v_mov_b32_e32 v4, 0
	v_addc_co_u32_e32 v3, vcc, v3, v60, vcc
	v_mov_b32_e32 v13, 0
	v_mov_b32_e32 v5, 0
	v_cmp_lt_i32_e64 s[62:63], 0, v52
	s_and_saveexec_b64 s[72:73], s[62:63]
	s_cbranch_execz .LBB12_1949
; %bb.1953:                             ;   in Loop: Header=BB12_1950 Depth=2
	flat_load_ushort v9, v[2:3] glc slc
	flat_load_ushort v10, v[2:3] offset:128 glc slc
	flat_load_ushort v11, v[2:3] offset:256 glc slc
	;; [unrolled: 1-line block ×15, first 2 shown]
	buffer_load_dword v4, off, s[0:3], s33 offset:296 ; 4-byte Folded Reload
	buffer_load_dword v5, off, s[0:3], s33 offset:300 ; 4-byte Folded Reload
	v_add_co_u32_e32 v2, vcc, 0x800, v2
	v_addc_co_u32_e32 v3, vcc, 0, v3, vcc
	v_mov_b32_e32 v13, v54
	s_branch .LBB12_1949
.LBB12_1954:                            ;   in Loop: Header=BB12_1845 Depth=1
	s_or_b64 exec, exec, s[58:59]
	s_and_b64 s[58:59], s[60:61], exec
.LBB12_1955:                            ;   in Loop: Header=BB12_1845 Depth=1
	s_or_b64 exec, exec, s[56:57]
	s_and_saveexec_b64 s[56:57], s[58:59]
	s_cbranch_execz .LBB12_1957
; %bb.1956:                             ;   in Loop: Header=BB12_1845 Depth=1
	flat_store_short v[0:1], v9 glc slc
	flat_store_short v[0:1], v10 offset:128 glc slc
	flat_store_short v[0:1], v11 offset:256 glc slc
	;; [unrolled: 1-line block ×15, first 2 shown]
.LBB12_1957:                            ;   in Loop: Header=BB12_1845 Depth=1
	s_or_b64 exec, exec, s[56:57]
	buffer_load_dword v10, off, s[0:3], s33 offset:372 ; 4-byte Folded Reload
	buffer_load_dword v11, off, s[0:3], s33 offset:376 ; 4-byte Folded Reload
	;; [unrolled: 1-line block ×3, first 2 shown]
	v_lshlrev_b32_e32 v0, 11, v8
	v_cmp_ne_u32_e32 vcc, v58, v0
	s_and_b64 s[56:57], exec, vcc
	s_mov_b64 exec, s[56:57]
	s_cbranch_execz .LBB12_1967
; %bb.1958:                             ;   in Loop: Header=BB12_1845 Depth=1
	v_lshlrev_b32_e32 v1, 6, v4
	v_sub_u32_e32 v1, v7, v1
	v_ashrrev_i32_e32 v2, 31, v1
	v_lshrrev_b32_e32 v2, 26, v2
	v_add_u32_e32 v2, v1, v2
	v_and_b32_e32 v3, 0x7fffffc0, v2
	v_sub_u32_e32 v1, v1, v3
	v_lshlrev_b32_e32 v2, 1, v2
	v_and_b32_e32 v2, 0xffffff80, v2
	v_lshlrev_b32_e32 v1, 1, v1
	v_add3_u32 v0, v2, v1, v0
	v_sub_u32_e32 v4, v58, v0
	v_cmp_lt_i32_e32 vcc, 1, v4
	s_and_b64 exec, exec, vcc
	s_cbranch_execz .LBB12_1967
; %bb.1959:                             ;   in Loop: Header=BB12_1845 Depth=1
	v_add_u32_e32 v2, v0, v6
	buffer_load_dword v5, off, s[0:3], s33 offset:304 ; 4-byte Folded Reload
	buffer_load_dword v6, off, s[0:3], s33 offset:308 ; 4-byte Folded Reload
	v_ashrrev_i32_e32 v3, 31, v2
	v_add_co_u32_e32 v0, vcc, v45, v2
	v_addc_co_u32_e32 v1, vcc, v46, v3, vcc
	s_mov_b64 s[60:61], 0
	s_mov_b64 s[56:57], 0
                                        ; implicit-def: $sgpr58_sgpr59
	s_waitcnt vmcnt(0)
	v_add_co_u32_e32 v2, vcc, v2, v5
	v_addc_co_u32_e32 v3, vcc, v3, v6, vcc
                                        ; implicit-def: $vgpr6
	s_branch .LBB12_1961
.LBB12_1960:                            ;   in Loop: Header=BB12_1961 Depth=2
	s_or_b64 exec, exec, s[62:63]
	s_waitcnt vmcnt(0) lgkmcnt(0)
	flat_store_short v[0:1], v7 glc slc
	v_add_co_u32_e32 v0, vcc, v0, v4
	v_addc_co_u32_e32 v1, vcc, v1, v5, vcc
	v_add_co_u32_e32 v2, vcc, v2, v4
	v_addc_co_u32_e32 v3, vcc, v3, v5, vcc
	;; [unrolled: 2-line block ×3, first 2 shown]
	v_sub_u32_e32 v4, v8, v9
	v_cmp_gt_i32_e32 vcc, 2, v4
	s_or_b64 s[56:57], vcc, s[56:57]
	s_andn2_b64 s[58:59], s[58:59], exec
	s_and_b64 s[62:63], s[60:61], exec
	s_or_b64 s[58:59], s[58:59], s[62:63]
	s_andn2_b64 exec, exec, s[56:57]
	s_cbranch_execz .LBB12_1965
.LBB12_1961:                            ;   Parent Loop BB12_1845 Depth=1
                                        ; =>  This Inner Loop Header: Depth=2
	flat_load_ushort v7, v[2:3] glc slc
	s_and_saveexec_b64 s[62:63], s[60:61]
	s_cbranch_execz .LBB12_1963
; %bb.1962:                             ;   in Loop: Header=BB12_1961 Depth=2
	v_add_co_u32_e32 v8, vcc, v0, v62
	v_addc_co_u32_e32 v9, vcc, v1, v12, vcc
	flat_store_short v[0:1], v6 glc slc
	v_mov_b32_e32 v0, v8
	v_mov_b32_e32 v1, v9
.LBB12_1963:                            ;   in Loop: Header=BB12_1961 Depth=2
	s_or_b64 exec, exec, s[62:63]
	v_add_co_u32_e32 v2, vcc, v2, v62
	v_sub_u32_e32 v8, v4, v61
	v_mov_b32_e32 v4, 0
	v_addc_co_u32_e32 v3, vcc, v3, v12, vcc
	v_cmp_lt_i32_e64 s[60:61], 1, v8
	v_mov_b32_e32 v5, 0
	v_mov_b32_e32 v9, 0
	s_and_saveexec_b64 s[62:63], s[60:61]
	s_cbranch_execz .LBB12_1960
; %bb.1964:                             ;   in Loop: Header=BB12_1961 Depth=2
	flat_load_ushort v6, v[2:3] glc slc
	v_add_co_u32_e32 v2, vcc, 0x80, v2
	v_mov_b32_e32 v4, v10
	v_addc_co_u32_e32 v3, vcc, 0, v3, vcc
	v_mov_b32_e32 v9, v61
	v_mov_b32_e32 v5, v11
	s_branch .LBB12_1960
.LBB12_1965:                            ;   in Loop: Header=BB12_1845 Depth=1
	s_or_b64 exec, exec, s[56:57]
	s_and_b64 exec, exec, s[58:59]
	s_cbranch_execz .LBB12_1967
; %bb.1966:                             ;   in Loop: Header=BB12_1845 Depth=1
	flat_store_short v[0:1], v6 glc slc
.LBB12_1967:                            ;   in Loop: Header=BB12_1845 Depth=1
	s_or_b64 exec, exec, s[20:21]
	buffer_load_dword v10, off, s[0:3], s33 offset:312 ; 4-byte Folded Reload
	buffer_load_dword v11, off, s[0:3], s33 offset:316 ; 4-byte Folded Reload
	s_waitcnt vmcnt(0)
	v_cmp_ne_u32_e64 s[20:21], 0, v41
	s_and_saveexec_b64 s[56:57], s[10:11]
	s_cbranch_execz .LBB12_1986
.LBB12_1968:                            ;   in Loop: Header=BB12_1845 Depth=1
	s_and_saveexec_b64 s[58:59], s[28:29]
	s_xor_b64 s[58:59], exec, s[58:59]
	s_cbranch_execz .LBB12_1983
; %bb.1969:                             ;   in Loop: Header=BB12_1845 Depth=1
	s_and_saveexec_b64 s[60:61], s[12:13]
	s_cbranch_execz .LBB12_1982
; %bb.1970:                             ;   in Loop: Header=BB12_1845 Depth=1
	s_mov_b64 s[72:73], exec
	v_mbcnt_lo_u32_b32 v0, s72, 0
	v_mbcnt_hi_u32_b32 v0, s73, v0
	v_cmp_eq_u32_e32 vcc, 0, v0
	s_waitcnt vmcnt(0) lgkmcnt(0)
	buffer_wbinvl1_vol
	s_and_saveexec_b64 s[62:63], vcc
	s_cbranch_execz .LBB12_1972
; %bb.1971:                             ;   in Loop: Header=BB12_1845 Depth=1
	s_bcnt1_i32_b64 s72, s[72:73]
	v_mov_b32_e32 v39, s72
	ds_add_u64 v0, v[39:40]
	s_trap 2
.LBB12_1972:                            ;   in Loop: Header=BB12_1845 Depth=1
	s_or_b64 exec, exec, s[62:63]
	s_trap 2
	ds_read_b64 v[0:1], v0
	s_waitcnt lgkmcnt(0)
	buffer_load_dword v2, off, s[0:3], s33 offset:160 ; 4-byte Folded Reload
	buffer_load_dword v3, off, s[0:3], s33 offset:164 ; 4-byte Folded Reload
	s_waitcnt vmcnt(1)
	v_add_co_u32_e32 v2, vcc, v2, v54
	s_waitcnt vmcnt(0)
	v_addc_co_u32_e32 v3, vcc, 0, v3, vcc
	buffer_store_dword v2, off, s[0:3], s33 offset:160 ; 4-byte Folded Spill
	s_nop 0
	buffer_store_dword v3, off, s[0:3], s33 offset:164 ; 4-byte Folded Spill
	v_cmp_lt_u64_e32 vcc, v[0:1], v[2:3]
	s_and_saveexec_b64 s[62:63], vcc
	s_cbranch_execz .LBB12_1981
; %bb.1973:                             ;   in Loop: Header=BB12_1845 Depth=1
	s_mov_b32 s92, 0
	s_mov_b64 s[72:73], 0
                                        ; implicit-def: $sgpr74_sgpr75
                                        ; implicit-def: $sgpr76_sgpr77
	s_branch .LBB12_1975
.LBB12_1974:                            ;   in Loop: Header=BB12_1975 Depth=2
	s_or_b64 exec, exec, s[88:89]
	s_and_b64 s[78:79], exec, s[90:91]
	s_or_b64 s[72:73], s[78:79], s[72:73]
	s_andn2_b64 s[74:75], s[74:75], exec
	s_and_b64 s[78:79], s[76:77], exec
	s_or_b64 s[74:75], s[74:75], s[78:79]
	s_andn2_b64 exec, exec, s[72:73]
	s_cbranch_execz .LBB12_1979
.LBB12_1975:                            ;   Parent Loop BB12_1845 Depth=1
                                        ; =>  This Inner Loop Header: Depth=2
	s_add_i32 s92, s92, 1
	s_cmpk_lg_i32 s92, 0x2710
	s_cselect_b64 s[78:79], -1, 0
	s_and_b64 vcc, exec, s[78:79]
	s_cbranch_vccz .LBB12_1977
; %bb.1976:                             ;   in Loop: Header=BB12_1975 Depth=2
	s_mov_b64 s[90:91], -1
	s_or_b64 s[76:77], s[76:77], exec
	s_and_saveexec_b64 s[88:89], s[78:79]
	s_cbranch_execz .LBB12_1974
	s_branch .LBB12_1978
.LBB12_1977:                            ;   in Loop: Header=BB12_1975 Depth=2
	s_trap 2
	ds_read_b64 v[0:1], v0
	s_andn2_b64 s[78:79], s[78:79], exec
	s_mov_b32 s92, 0
	s_waitcnt vmcnt(0) lgkmcnt(0)
	flat_load_dword v0, v[0:1] glc
	s_waitcnt vmcnt(0) lgkmcnt(0)
	buffer_wbinvl1_vol
	v_cmp_eq_u32_e32 vcc, 0, v0
	s_and_b64 s[88:89], vcc, exec
	s_or_b64 s[78:79], s[78:79], s[88:89]
	s_mov_b64 s[90:91], -1
	s_or_b64 s[76:77], s[76:77], exec
	s_and_saveexec_b64 s[88:89], s[78:79]
	s_cbranch_execz .LBB12_1974
.LBB12_1978:                            ;   in Loop: Header=BB12_1975 Depth=2
	s_sleep 1
	s_trap 2
	ds_read_b64 v[0:1], v0
	s_waitcnt lgkmcnt(0)
	buffer_load_dword v2, off, s[0:3], s33 offset:160 ; 4-byte Folded Reload
	buffer_load_dword v3, off, s[0:3], s33 offset:164 ; 4-byte Folded Reload
	s_andn2_b64 s[76:77], s[76:77], exec
	s_waitcnt vmcnt(0)
	v_cmp_ge_u64_e32 vcc, v[0:1], v[2:3]
	s_orn2_b64 s[90:91], vcc, exec
	s_branch .LBB12_1974
.LBB12_1979:                            ;   in Loop: Header=BB12_1845 Depth=1
	s_or_b64 exec, exec, s[72:73]
	s_and_saveexec_b64 s[72:73], s[74:75]
	s_xor_b64 s[72:73], exec, s[72:73]
	s_cbranch_execz .LBB12_1981
; %bb.1980:                             ;   in Loop: Header=BB12_1845 Depth=1
	v_mov_b32_e32 v0, 1
	ds_write_b32 v0, v0
	s_trap 2
.LBB12_1981:                            ;   in Loop: Header=BB12_1845 Depth=1
	s_or_b64 exec, exec, s[62:63]
	;;#ASMSTART
	s_wakeup
	;;#ASMEND
.LBB12_1982:                            ;   in Loop: Header=BB12_1845 Depth=1
	s_or_b64 exec, exec, s[60:61]
.LBB12_1983:                            ;   in Loop: Header=BB12_1845 Depth=1
	s_andn2_saveexec_b64 s[58:59], s[58:59]
	s_cbranch_execz .LBB12_1985
; %bb.1984:                             ;   in Loop: Header=BB12_1845 Depth=1
	s_waitcnt vmcnt(0) lgkmcnt(0)
	buffer_wbinvl1_vol
	s_barrier
.LBB12_1985:                            ;   in Loop: Header=BB12_1845 Depth=1
	s_or_b64 exec, exec, s[58:59]
.LBB12_1986:                            ;   in Loop: Header=BB12_1845 Depth=1
	s_or_b64 exec, exec, s[56:57]
	v_and_b32_e32 v0, 16, v53
	v_cmp_ne_u32_e32 vcc, 0, v0
	s_and_b64 s[56:57], vcc, s[20:21]
	s_and_saveexec_b64 s[20:21], s[56:57]
	s_cbranch_execz .LBB12_1988
; %bb.1987:                             ;   in Loop: Header=BB12_1845 Depth=1
	s_waitcnt vmcnt(0) lgkmcnt(0)
	buffer_wbinvl1_vol
.LBB12_1988:                            ;   in Loop: Header=BB12_1845 Depth=1
	s_or_b64 exec, exec, s[20:21]
	v_cmp_ne_u32_e32 vcc, 0, v0
	s_and_saveexec_b64 s[20:21], vcc
	s_cbranch_execz .LBB12_1992
; %bb.1989:                             ;   in Loop: Header=BB12_1845 Depth=1
	s_and_saveexec_b64 s[56:57], s[18:19]
	s_cbranch_execz .LBB12_1991
; %bb.1990:                             ;   in Loop: Header=BB12_1845 Depth=1
	buffer_load_dword v0, off, s[0:3], s33 offset:416 ; 4-byte Folded Reload
	buffer_load_dword v1, off, s[0:3], s33 offset:420 ; 4-byte Folded Reload
	v_mov_b32_e32 v2, 1
	s_waitcnt vmcnt(0)
	flat_store_dword v[0:1], v2
.LBB12_1991:                            ;   in Loop: Header=BB12_1845 Depth=1
	s_or_b64 exec, exec, s[56:57]
	buffer_load_dword v0, off, s[0:3], s33 offset:144 ; 4-byte Folded Reload
	buffer_load_dword v1, off, s[0:3], s33 offset:148 ; 4-byte Folded Reload
	;; [unrolled: 1-line block ×4, first 2 shown]
	s_waitcnt vmcnt(0)
	v_add_co_u32_e32 v2, vcc, 1, v2
	v_addc_co_u32_e32 v3, vcc, 0, v3, vcc
	buffer_store_dword v0, off, s[0:3], s33 offset:144 ; 4-byte Folded Spill
	s_nop 0
	buffer_store_dword v1, off, s[0:3], s33 offset:148 ; 4-byte Folded Spill
	buffer_store_dword v2, off, s[0:3], s33 offset:152 ; 4-byte Folded Spill
	;; [unrolled: 1-line block ×3, first 2 shown]
	buffer_load_dword v0, off, s[0:3], s33 offset:136 ; 4-byte Folded Reload
	s_nop 0
	buffer_load_dword v1, off, s[0:3], s33 offset:140 ; 4-byte Folded Reload
	s_waitcnt vmcnt(0)
	flat_store_dwordx2 v[0:1], v[2:3]
.LBB12_1992:                            ;   in Loop: Header=BB12_1845 Depth=1
	s_or_b64 exec, exec, s[20:21]
	v_mov_b32_e32 v0, v43
.LBB12_1993:                            ;   in Loop: Header=BB12_1845 Depth=1
	s_or_b64 exec, exec, s[46:47]
	s_and_saveexec_b64 s[46:47], s[44:45]
	s_cbranch_execz .LBB12_1844
; %bb.1994:                             ;   in Loop: Header=BB12_1845 Depth=1
	v_sub_u32_e32 v0, v42, v0
	v_and_b32_e32 v1, 8, v53
	v_min_i32_e32 v0, v43, v0
	v_cmp_ne_u32_e32 vcc, 0, v1
	s_and_saveexec_b64 s[44:45], vcc
	s_cbranch_execz .LBB12_2016
; %bb.1995:                             ;   in Loop: Header=BB12_1845 Depth=1
	buffer_load_dword v1, off, s[0:3], s33 offset:128 ; 4-byte Folded Reload
	buffer_load_dword v2, off, s[0:3], s33 offset:132 ; 4-byte Folded Reload
	buffer_load_dword v6, off, s[0:3], s33 offset:144 ; 4-byte Folded Reload
	buffer_load_dword v7, off, s[0:3], s33 offset:148 ; 4-byte Folded Reload
	buffer_load_dword v8, off, s[0:3], s33 offset:152 ; 4-byte Folded Reload
	buffer_load_dword v9, off, s[0:3], s33 offset:156 ; 4-byte Folded Reload
	s_waitcnt vmcnt(0)
	v_add_co_u32_e32 v4, vcc, 8, v1
	v_addc_co_u32_e32 v5, vcc, 0, v2, vcc
	v_add_co_u32_e32 v2, vcc, 1, v8
	v_addc_co_u32_e32 v3, vcc, 0, v9, vcc
	v_cmp_lt_u64_e32 vcc, v[4:5], v[2:3]
	s_and_saveexec_b64 s[56:57], vcc
	s_cbranch_execz .LBB12_2007
; %bb.1996:                             ;   in Loop: Header=BB12_1845 Depth=1
	v_and_b32_e32 v1, 64, v53
	s_mov_b32 s92, 0
	v_cmp_eq_u32_e32 vcc, 0, v1
	s_mov_b64 s[58:59], 0
                                        ; implicit-def: $sgpr60_sgpr61
                                        ; implicit-def: $sgpr62_sgpr63
                                        ; implicit-def: $sgpr72_sgpr73
	s_branch .LBB12_2000
.LBB12_1997:                            ;   in Loop: Header=BB12_2000 Depth=2
	buffer_load_dword v4, off, s[0:3], s33 offset:128 ; 4-byte Folded Reload
	buffer_load_dword v5, off, s[0:3], s33 offset:132 ; 4-byte Folded Reload
	s_or_b64 s[78:79], s[78:79], exec
	s_waitcnt vmcnt(1)
	v_add_co_u32_e64 v4, s[20:21], 8, v4
	s_waitcnt vmcnt(0)
	v_addc_co_u32_e64 v5, s[20:21], 0, v5, s[20:21]
	v_cmp_ge_u64_e64 s[20:21], v[4:5], v[2:3]
	s_orn2_b64 s[76:77], s[20:21], exec
.LBB12_1998:                            ;   in Loop: Header=BB12_2000 Depth=2
	s_or_b64 exec, exec, s[90:91]
	s_andn2_b64 s[20:21], s[72:73], exec
	s_and_b64 s[72:73], s[78:79], exec
	s_or_b64 s[72:73], s[20:21], s[72:73]
	s_andn2_b64 s[20:21], s[62:63], exec
	s_and_b64 s[62:63], s[76:77], exec
	s_or_b64 s[62:63], s[20:21], s[62:63]
.LBB12_1999:                            ;   in Loop: Header=BB12_2000 Depth=2
	s_or_b64 exec, exec, s[74:75]
	s_and_b64 s[20:21], exec, s[62:63]
	s_or_b64 s[58:59], s[20:21], s[58:59]
	s_andn2_b64 s[20:21], s[60:61], exec
	s_and_b64 s[60:61], s[72:73], exec
	s_or_b64 s[60:61], s[20:21], s[60:61]
	s_andn2_b64 exec, exec, s[58:59]
	s_cbranch_execz .LBB12_2004
.LBB12_2000:                            ;   Parent Loop BB12_1845 Depth=1
                                        ; =>  This Inner Loop Header: Depth=2
	s_sleep 1
	buffer_load_dword v4, off, s[0:3], s33 offset:136 ; 4-byte Folded Reload
	buffer_load_dword v5, off, s[0:3], s33 offset:140 ; 4-byte Folded Reload
	s_or_b64 s[72:73], s[72:73], exec
	s_or_b64 s[62:63], s[62:63], exec
                                        ; implicit-def: $vgpr1
	s_waitcnt vmcnt(0)
	flat_load_dwordx2 v[4:5], v[4:5] glc
	s_waitcnt vmcnt(0) lgkmcnt(0)
	buffer_store_dword v4, off, s[0:3], s33 offset:128 ; 4-byte Folded Spill
	s_nop 0
	buffer_store_dword v5, off, s[0:3], s33 offset:132 ; 4-byte Folded Spill
	s_and_saveexec_b64 s[74:75], vcc
	s_cbranch_execz .LBB12_1999
; %bb.2001:                             ;   in Loop: Header=BB12_2000 Depth=2
	s_cmpk_lt_i32 s92, 0x270f
	s_cselect_b64 s[88:89], -1, 0
	s_cmpk_gt_i32 s92, 0x270e
	s_mov_b64 s[76:77], -1
	s_cbranch_scc0 .LBB12_2003
; %bb.2002:                             ;   in Loop: Header=BB12_2000 Depth=2
	s_trap 2
	ds_read_b64 v[4:5], v0
	s_andn2_b64 s[88:89], s[88:89], exec
	s_mov_b32 s92, 0
	s_mov_b64 s[78:79], 0
	s_waitcnt vmcnt(0) lgkmcnt(0)
	flat_load_dword v1, v[4:5] glc
	s_waitcnt vmcnt(0) lgkmcnt(0)
	buffer_wbinvl1_vol
	v_cmp_eq_u32_e64 s[20:21], 0, v1
	s_and_b64 s[20:21], s[20:21], exec
	s_or_b64 s[88:89], s[88:89], s[20:21]
	s_and_saveexec_b64 s[90:91], s[88:89]
	s_cbranch_execz .LBB12_1998
	s_branch .LBB12_1997
.LBB12_2003:                            ;   in Loop: Header=BB12_2000 Depth=2
	s_add_i32 s92, s92, 1
	s_mov_b64 s[78:79], -1
                                        ; implicit-def: $vgpr1
	s_and_saveexec_b64 s[90:91], s[88:89]
	s_cbranch_execz .LBB12_1998
	s_branch .LBB12_1997
.LBB12_2004:                            ;   in Loop: Header=BB12_1845 Depth=1
	s_or_b64 exec, exec, s[58:59]
	s_xor_b64 s[20:21], s[60:61], -1
	s_and_saveexec_b64 s[58:59], s[20:21]
	s_xor_b64 s[20:21], exec, s[58:59]
	s_cbranch_execz .LBB12_2006
; %bb.2005:                             ;   in Loop: Header=BB12_1845 Depth=1
	v_or_b32_e32 v53, 64, v53
	ds_write_b32 v0, v1
	s_trap 2
.LBB12_2006:                            ;   in Loop: Header=BB12_1845 Depth=1
	s_or_b64 exec, exec, s[20:21]
.LBB12_2007:                            ;   in Loop: Header=BB12_1845 Depth=1
	s_or_b64 exec, exec, s[56:57]
	;;#ASMSTART
	s_wakeup
	;;#ASMEND
	buffer_load_dword v4, off, s[0:3], s33 offset:144 ; 4-byte Folded Reload
	buffer_load_dword v5, off, s[0:3], s33 offset:148 ; 4-byte Folded Reload
	;; [unrolled: 1-line block ×4, first 2 shown]
	v_and_b32_e32 v1, 0x100, v53
	v_cmp_ne_u32_e32 vcc, 0, v1
	s_mov_b64 s[20:21], -1
                                        ; implicit-def: $vgpr4_vgpr5
	s_waitcnt vmcnt(0)
	v_and_b32_e32 v8, 7, v6
	s_and_saveexec_b64 s[56:57], vcc
	s_cbranch_execz .LBB12_2011
; %bb.2008:                             ;   in Loop: Header=BB12_1845 Depth=1
	buffer_load_dword v4, off, s[0:3], s33 offset:144 ; 4-byte Folded Reload
	buffer_load_dword v5, off, s[0:3], s33 offset:148 ; 4-byte Folded Reload
	;; [unrolled: 1-line block ×4, first 2 shown]
	v_ashrrev_i32_e32 v1, 31, v0
	s_waitcnt vmcnt(0)
	v_mad_u64_u32 v[6:7], s[20:21], v8, 24, v[4:5]
	v_lshlrev_b64 v[4:5], 1, v[0:1]
	flat_load_dword v9, v[6:7]
	s_nop 0
	flat_store_dwordx2 v[6:7], v[4:5] offset:8
                                        ; implicit-def: $vgpr4_vgpr5
	s_waitcnt vmcnt(0) lgkmcnt(0)
	v_cmp_ne_u32_e32 vcc, 1, v9
	v_cmp_eq_u32_e64 s[20:21], 1, v9
	s_and_saveexec_b64 s[58:59], s[20:21]
	s_cbranch_execz .LBB12_2010
; %bb.2009:                             ;   in Loop: Header=BB12_1845 Depth=1
	flat_load_dword v4, v[6:7] offset:4 glc
	s_waitcnt vmcnt(0) lgkmcnt(0)
	v_ashrrev_i32_e32 v5, 31, v4
	v_lshrrev_b64 v[4:5], 1, v[4:5]
.LBB12_2010:                            ;   in Loop: Header=BB12_1845 Depth=1
	s_or_b64 exec, exec, s[58:59]
	s_orn2_b64 s[20:21], vcc, exec
.LBB12_2011:                            ;   in Loop: Header=BB12_1845 Depth=1
	s_or_b64 exec, exec, s[56:57]
	s_and_saveexec_b64 s[56:57], s[20:21]
	s_cbranch_execz .LBB12_2013
; %bb.2012:                             ;   in Loop: Header=BB12_1845 Depth=1
	buffer_load_dword v1, off, s[0:3], s33 offset:412 ; 4-byte Folded Reload
	s_waitcnt vmcnt(0)
	v_mad_i64_i32 v[4:5], s[20:21], v8, v1, 0
.LBB12_2013:                            ;   in Loop: Header=BB12_1845 Depth=1
	s_or_b64 exec, exec, s[56:57]
	buffer_load_dword v6, off, s[0:3], s33 offset:320 ; 4-byte Folded Reload
	buffer_load_dword v7, off, s[0:3], s33 offset:324 ; 4-byte Folded Reload
	v_lshlrev_b64 v[4:5], 1, v[4:5]
	v_and_b32_e32 v1, 0x2000, v53
	s_waitcnt vmcnt(0)
	v_add_co_u32_e32 v4, vcc, v6, v4
	v_addc_co_u32_e32 v5, vcc, v7, v5, vcc
	v_cmp_ne_u32_e32 vcc, 0, v1
	ds_write_b64 v0, v[4:5] offset:784
	s_and_saveexec_b64 s[20:21], vcc
	s_cbranch_execz .LBB12_2015
; %bb.2014:                             ;   in Loop: Header=BB12_1845 Depth=1
	ds_read_b64 v[4:5], v0 offset:872
	s_waitcnt lgkmcnt(0)
	v_add_co_u32_e32 v4, vcc, 1, v4
	v_addc_co_u32_e32 v5, vcc, 0, v5, vcc
	ds_write_b64 v0, v[4:5] offset:872
.LBB12_2015:                            ;   in Loop: Header=BB12_1845 Depth=1
	s_or_b64 exec, exec, s[20:21]
	buffer_load_dword v4, off, s[0:3], s33 offset:144 ; 4-byte Folded Reload
	buffer_load_dword v5, off, s[0:3], s33 offset:148 ; 4-byte Folded Reload
	;; [unrolled: 1-line block ×4, first 2 shown]
	s_waitcnt vmcnt(0)
	v_mov_b32_e32 v7, v3
	v_mov_b32_e32 v6, v2
	buffer_store_dword v4, off, s[0:3], s33 offset:144 ; 4-byte Folded Spill
	s_nop 0
	buffer_store_dword v5, off, s[0:3], s33 offset:148 ; 4-byte Folded Spill
	buffer_store_dword v6, off, s[0:3], s33 offset:152 ; 4-byte Folded Spill
	;; [unrolled: 1-line block ×3, first 2 shown]
.LBB12_2016:                            ;   in Loop: Header=BB12_1845 Depth=1
	s_or_b64 exec, exec, s[44:45]
	s_and_saveexec_b64 s[20:21], s[10:11]
	s_cbranch_execz .LBB12_2035
; %bb.2017:                             ;   in Loop: Header=BB12_1845 Depth=1
	s_and_saveexec_b64 s[44:45], s[28:29]
	s_xor_b64 s[44:45], exec, s[44:45]
	s_cbranch_execz .LBB12_2032
; %bb.2018:                             ;   in Loop: Header=BB12_1845 Depth=1
	s_and_saveexec_b64 s[56:57], s[12:13]
	s_cbranch_execz .LBB12_2031
; %bb.2019:                             ;   in Loop: Header=BB12_1845 Depth=1
	s_mov_b64 s[60:61], exec
	v_mbcnt_lo_u32_b32 v1, s60, 0
	v_mbcnt_hi_u32_b32 v1, s61, v1
	v_cmp_eq_u32_e32 vcc, 0, v1
	s_waitcnt vmcnt(0) lgkmcnt(0)
	buffer_wbinvl1_vol
	s_and_saveexec_b64 s[58:59], vcc
	s_cbranch_execz .LBB12_2021
; %bb.2020:                             ;   in Loop: Header=BB12_1845 Depth=1
	s_bcnt1_i32_b64 s60, s[60:61]
	v_mov_b32_e32 v39, s60
	ds_add_u64 v0, v[39:40]
	s_trap 2
.LBB12_2021:                            ;   in Loop: Header=BB12_1845 Depth=1
	s_or_b64 exec, exec, s[58:59]
	s_trap 2
	ds_read_b64 v[1:2], v0
	s_waitcnt lgkmcnt(0)
	buffer_load_dword v3, off, s[0:3], s33 offset:160 ; 4-byte Folded Reload
	buffer_load_dword v4, off, s[0:3], s33 offset:164 ; 4-byte Folded Reload
	s_waitcnt vmcnt(1)
	v_add_co_u32_e32 v3, vcc, v3, v54
	s_waitcnt vmcnt(0)
	v_addc_co_u32_e32 v4, vcc, 0, v4, vcc
	buffer_store_dword v3, off, s[0:3], s33 offset:160 ; 4-byte Folded Spill
	s_nop 0
	buffer_store_dword v4, off, s[0:3], s33 offset:164 ; 4-byte Folded Spill
	v_cmp_lt_u64_e32 vcc, v[1:2], v[3:4]
	s_and_saveexec_b64 s[58:59], vcc
	s_cbranch_execz .LBB12_2030
; %bb.2022:                             ;   in Loop: Header=BB12_1845 Depth=1
	s_mov_b32 s88, 0
	s_mov_b64 s[60:61], 0
                                        ; implicit-def: $sgpr62_sgpr63
                                        ; implicit-def: $sgpr72_sgpr73
	s_branch .LBB12_2024
.LBB12_2023:                            ;   in Loop: Header=BB12_2024 Depth=2
	s_or_b64 exec, exec, s[76:77]
	s_and_b64 s[74:75], exec, s[78:79]
	s_or_b64 s[60:61], s[74:75], s[60:61]
	s_andn2_b64 s[62:63], s[62:63], exec
	s_and_b64 s[74:75], s[72:73], exec
	s_or_b64 s[62:63], s[62:63], s[74:75]
	s_andn2_b64 exec, exec, s[60:61]
	s_cbranch_execz .LBB12_2028
.LBB12_2024:                            ;   Parent Loop BB12_1845 Depth=1
                                        ; =>  This Inner Loop Header: Depth=2
	s_add_i32 s88, s88, 1
	s_cmpk_lg_i32 s88, 0x2710
	s_cselect_b64 s[74:75], -1, 0
	s_and_b64 vcc, exec, s[74:75]
	s_cbranch_vccz .LBB12_2026
; %bb.2025:                             ;   in Loop: Header=BB12_2024 Depth=2
	s_mov_b64 s[78:79], -1
	s_or_b64 s[72:73], s[72:73], exec
	s_and_saveexec_b64 s[76:77], s[74:75]
	s_cbranch_execz .LBB12_2023
	s_branch .LBB12_2027
.LBB12_2026:                            ;   in Loop: Header=BB12_2024 Depth=2
	s_trap 2
	ds_read_b64 v[1:2], v0
	s_andn2_b64 s[74:75], s[74:75], exec
	s_mov_b32 s88, 0
	s_waitcnt vmcnt(0) lgkmcnt(0)
	flat_load_dword v1, v[1:2] glc
	s_waitcnt vmcnt(0) lgkmcnt(0)
	buffer_wbinvl1_vol
	v_cmp_eq_u32_e32 vcc, 0, v1
	s_and_b64 s[76:77], vcc, exec
	s_or_b64 s[74:75], s[74:75], s[76:77]
	s_mov_b64 s[78:79], -1
	s_or_b64 s[72:73], s[72:73], exec
	s_and_saveexec_b64 s[76:77], s[74:75]
	s_cbranch_execz .LBB12_2023
.LBB12_2027:                            ;   in Loop: Header=BB12_2024 Depth=2
	s_sleep 1
	s_trap 2
	ds_read_b64 v[1:2], v0
	s_waitcnt lgkmcnt(0)
	buffer_load_dword v3, off, s[0:3], s33 offset:160 ; 4-byte Folded Reload
	buffer_load_dword v4, off, s[0:3], s33 offset:164 ; 4-byte Folded Reload
	s_andn2_b64 s[72:73], s[72:73], exec
	s_waitcnt vmcnt(0)
	v_cmp_ge_u64_e32 vcc, v[1:2], v[3:4]
	s_orn2_b64 s[78:79], vcc, exec
	s_branch .LBB12_2023
.LBB12_2028:                            ;   in Loop: Header=BB12_1845 Depth=1
	s_or_b64 exec, exec, s[60:61]
	s_and_saveexec_b64 s[60:61], s[62:63]
	s_xor_b64 s[60:61], exec, s[60:61]
	s_cbranch_execz .LBB12_2030
; %bb.2029:                             ;   in Loop: Header=BB12_1845 Depth=1
	v_mov_b32_e32 v1, 1
	ds_write_b32 v0, v1
	s_trap 2
.LBB12_2030:                            ;   in Loop: Header=BB12_1845 Depth=1
	s_or_b64 exec, exec, s[58:59]
	;;#ASMSTART
	s_wakeup
	;;#ASMEND
.LBB12_2031:                            ;   in Loop: Header=BB12_1845 Depth=1
	s_or_b64 exec, exec, s[56:57]
.LBB12_2032:                            ;   in Loop: Header=BB12_1845 Depth=1
	s_andn2_saveexec_b64 s[44:45], s[44:45]
	s_cbranch_execz .LBB12_2034
; %bb.2033:                             ;   in Loop: Header=BB12_1845 Depth=1
	s_waitcnt vmcnt(0) lgkmcnt(0)
	buffer_wbinvl1_vol
	s_barrier
.LBB12_2034:                            ;   in Loop: Header=BB12_1845 Depth=1
	s_or_b64 exec, exec, s[44:45]
.LBB12_2035:                            ;   in Loop: Header=BB12_1845 Depth=1
	s_or_b64 exec, exec, s[20:21]
	s_trap 2
	ds_read_b32 v1, v0
	v_cmp_lt_i32_e32 vcc, 0, v0
	v_and_b32_e32 v0, 16, v53
	s_waitcnt lgkmcnt(0)
	v_readfirstlane_b32 s20, v1
	s_cmp_eq_u32 s20, 0
	s_cselect_b64 s[20:21], -1, 0
	s_and_b64 s[20:21], vcc, s[20:21]
	v_cmp_ne_u32_e32 vcc, 0, v0
	s_and_b64 s[44:45], vcc, s[20:21]
	s_and_saveexec_b64 s[20:21], s[44:45]
	s_cbranch_execz .LBB12_2037
; %bb.2036:                             ;   in Loop: Header=BB12_1845 Depth=1
	s_waitcnt vmcnt(0)
	buffer_wbinvl1_vol
.LBB12_2037:                            ;   in Loop: Header=BB12_1845 Depth=1
	s_or_b64 exec, exec, s[20:21]
	v_cmp_ne_u32_e32 vcc, 0, v0
	s_and_saveexec_b64 s[20:21], vcc
	s_cbranch_execz .LBB12_1843
; %bb.2038:                             ;   in Loop: Header=BB12_1845 Depth=1
	s_and_saveexec_b64 s[44:45], s[18:19]
	s_cbranch_execz .LBB12_1842
; %bb.2039:                             ;   in Loop: Header=BB12_1845 Depth=1
	buffer_load_dword v0, off, s[0:3], s33 offset:416 ; 4-byte Folded Reload
	buffer_load_dword v1, off, s[0:3], s33 offset:420 ; 4-byte Folded Reload
	v_mov_b32_e32 v2, 1
	s_waitcnt vmcnt(0)
	flat_store_dword v[0:1], v2
	s_branch .LBB12_1842
.LBB12_2040:
	s_or_b64 exec, exec, s[40:41]
.LBB12_2041:
	s_or_b64 exec, exec, s[26:27]
.LBB12_2042:
	s_or_b64 exec, exec, s[22:23]
	v_and_b32_e32 v0, 0x800, v53
	v_cmp_eq_u32_e32 vcc, 0, v0
	s_and_saveexec_b64 s[6:7], vcc
	s_cbranch_execz .LBB12_2075
; %bb.2043:
	v_and_b32_e32 v0, 48, v53
	v_cmp_ne_u32_e32 vcc, 0, v0
	s_and_saveexec_b64 s[4:5], vcc
	s_cbranch_execz .LBB12_2045
; %bb.2044:
	buffer_load_dword v0, off, s[0:3], s33 offset:144 ; 4-byte Folded Reload
	buffer_load_dword v1, off, s[0:3], s33 offset:148 ; 4-byte Folded Reload
	;; [unrolled: 1-line block ×6, first 2 shown]
	s_waitcnt vmcnt(0)
	flat_store_dwordx2 v[0:1], v[2:3] offset:104
.LBB12_2045:
	s_or_b64 exec, exec, s[4:5]
	s_movk_i32 s4, 0x88
	v_and_b32_e32 v0, 0x88, v53
	v_cmp_eq_u32_e32 vcc, s4, v0
	s_and_saveexec_b64 s[10:11], vcc
	s_cbranch_execz .LBB12_2055
; %bb.2046:
	buffer_load_dword v0, off, s[0:3], s33 offset:144 ; 4-byte Folded Reload
	buffer_load_dword v1, off, s[0:3], s33 offset:148 ; 4-byte Folded Reload
	;; [unrolled: 1-line block ×4, first 2 shown]
	v_and_b32_e32 v4, 64, v53
	s_mov_b32 s22, 0
	s_waitcnt vmcnt(0)
	v_mov_b32_e32 v3, v2
	v_mov_b32_e32 v2, v1
	;; [unrolled: 1-line block ×3, first 2 shown]
	v_add_u32_e32 v0, -1, v3
	v_and_b32_e32 v0, 7, v0
	v_mad_u64_u32 v[0:1], s[4:5], v0, 24, v[1:2]
	v_cmp_eq_u32_e64 s[4:5], 0, v4
	flat_load_dwordx2 v[2:3], v[0:1] offset:8 glc
	s_waitcnt vmcnt(0) lgkmcnt(0)
	v_cmp_ne_u64_e32 vcc, -1, v[2:3]
	s_and_b64 s[4:5], vcc, s[4:5]
	s_and_b64 exec, exec, s[4:5]
	s_cbranch_execz .LBB12_2055
; %bb.2047:
	s_mov_b64 s[4:5], 0
                                        ; implicit-def: $sgpr12_sgpr13
                                        ; implicit-def: $sgpr14_sgpr15
	s_branch .LBB12_2050
.LBB12_2048:                            ;   in Loop: Header=BB12_2050 Depth=1
	flat_load_dwordx2 v[3:4], v[0:1] offset:8 glc
	s_waitcnt vmcnt(0)
	s_andn2_b64 s[14:15], s[14:15], exec
	s_waitcnt lgkmcnt(0)
	v_cmp_eq_u64_e32 vcc, -1, v[3:4]
	s_orn2_b64 s[18:19], vcc, exec
.LBB12_2049:                            ;   in Loop: Header=BB12_2050 Depth=1
	s_or_b64 exec, exec, s[20:21]
	s_and_b64 s[16:17], exec, s[18:19]
	s_or_b64 s[4:5], s[16:17], s[4:5]
	s_andn2_b64 s[12:13], s[12:13], exec
	s_and_b64 s[16:17], s[14:15], exec
	s_or_b64 s[12:13], s[12:13], s[16:17]
	s_andn2_b64 exec, exec, s[4:5]
	s_cbranch_execz .LBB12_2053
.LBB12_2050:                            ; =>This Inner Loop Header: Depth=1
	s_cmpk_lt_i32 s22, 0x270f
	s_cselect_b64 s[16:17], -1, 0
	s_and_b64 vcc, exec, s[16:17]
	s_cbranch_vccnz .LBB12_2052
; %bb.2051:                             ;   in Loop: Header=BB12_2050 Depth=1
	s_trap 2
	ds_read_b64 v[2:3], v0
	s_andn2_b64 s[16:17], s[16:17], exec
	s_mov_b32 s22, 0
	s_waitcnt lgkmcnt(0)
	flat_load_dword v2, v[2:3] glc
	s_waitcnt vmcnt(0) lgkmcnt(0)
	buffer_wbinvl1_vol
	v_cmp_eq_u32_e32 vcc, 0, v2
	s_and_b64 s[18:19], vcc, exec
	s_or_b64 s[16:17], s[16:17], s[18:19]
	s_mov_b64 s[18:19], -1
	s_or_b64 s[14:15], s[14:15], exec
	s_and_saveexec_b64 s[20:21], s[16:17]
	s_cbranch_execz .LBB12_2049
	s_branch .LBB12_2048
.LBB12_2052:                            ;   in Loop: Header=BB12_2050 Depth=1
	s_add_i32 s22, s22, 1
                                        ; implicit-def: $vgpr2
	s_mov_b64 s[18:19], -1
	s_or_b64 s[14:15], s[14:15], exec
	s_and_saveexec_b64 s[20:21], s[16:17]
	s_cbranch_execz .LBB12_2049
	s_branch .LBB12_2048
.LBB12_2053:
	s_or_b64 exec, exec, s[4:5]
	s_and_saveexec_b64 s[4:5], s[12:13]
	s_xor_b64 s[4:5], exec, s[4:5]
	s_cbranch_execz .LBB12_2055
; %bb.2054:
	ds_write_b32 v0, v2
	s_trap 2
.LBB12_2055:
	s_or_b64 exec, exec, s[10:11]
	v_and_b32_e32 v0, 0x2000, v53
	v_cmp_ne_u32_e32 vcc, 0, v0
	s_and_saveexec_b64 s[4:5], vcc
	s_cbranch_execz .LBB12_2057
; %bb.2056:
	s_trap 2
	ds_read_b64 v[0:1], v0
	buffer_load_dword v2, off, s[0:3], s33 offset:568 ; 4-byte Folded Reload
	buffer_load_dword v3, off, s[0:3], s33 offset:572 ; 4-byte Folded Reload
	s_waitcnt vmcnt(0) lgkmcnt(0)
	flat_store_dwordx2 v[2:3], v[0:1] offset:16
.LBB12_2057:
	s_or_b64 exec, exec, s[4:5]
	buffer_load_dword v0, off, s[0:3], s33 offset:408 ; 4-byte Folded Reload
	s_waitcnt vmcnt(0)
	v_cmp_ne_u32_e32 vcc, 64, v0
	s_and_b64 exec, exec, vcc
	s_cbranch_execz .LBB12_2075
; %bb.2058:
	buffer_load_dword v0, off, s[0:3], s33 offset:408 ; 4-byte Folded Reload
	buffer_load_dword v1, off, s[0:3], s33 offset:460 ; 4-byte Folded Reload
	s_waitcnt vmcnt(0)
	v_cmp_ne_u32_sdwa s[4:5], v0, v1 src0_sel:DWORD src1_sel:WORD_0
	s_and_saveexec_b64 s[10:11], s[4:5]
	s_xor_b64 s[4:5], exec, s[10:11]
	s_cbranch_execz .LBB12_2073
; %bb.2059:
	buffer_load_dword v0, off, s[0:3], s33 offset:444 ; 4-byte Folded Reload
	s_waitcnt vmcnt(0)
	v_and_b32_e32 v0, 63, v0
	v_cmp_eq_u32_e32 vcc, 0, v0
	s_and_saveexec_b64 s[10:11], vcc
	s_cbranch_execz .LBB12_2072
; %bb.2060:
	s_mov_b64 s[14:15], exec
	v_mbcnt_lo_u32_b32 v0, s14, 0
	v_mbcnt_hi_u32_b32 v0, s15, v0
	v_cmp_eq_u32_e32 vcc, 0, v0
	s_waitcnt lgkmcnt(0)
	buffer_wbinvl1_vol
	s_and_saveexec_b64 s[12:13], vcc
	s_cbranch_execz .LBB12_2062
; %bb.2061:
	s_bcnt1_i32_b64 s14, s[14:15]
	v_mov_b32_e32 v0, s14
	v_mov_b32_e32 v1, 0
	ds_add_u64 v0, v[0:1]
	s_trap 2
.LBB12_2062:
	s_or_b64 exec, exec, s[12:13]
	buffer_load_dword v0, off, s[0:3], s33 offset:408 ; 4-byte Folded Reload
	s_trap 2
	s_waitcnt vmcnt(0)
	v_lshrrev_b32_e32 v0, 6, v0
	ds_read_b64 v[2:3], v0
	s_waitcnt lgkmcnt(0)
	buffer_load_dword v4, off, s[0:3], s33 offset:160 ; 4-byte Folded Reload
	buffer_load_dword v5, off, s[0:3], s33 offset:164 ; 4-byte Folded Reload
	s_waitcnt vmcnt(1)
	v_add_co_u32_e32 v0, vcc, v4, v0
	s_waitcnt vmcnt(0)
	v_addc_co_u32_e32 v1, vcc, 0, v5, vcc
	v_cmp_lt_u64_e32 vcc, v[2:3], v[0:1]
	s_and_saveexec_b64 s[12:13], vcc
	s_cbranch_execz .LBB12_2071
; %bb.2063:
	s_mov_b32 s28, 0
	s_mov_b64 s[14:15], 0
                                        ; implicit-def: $sgpr16_sgpr17
                                        ; implicit-def: $sgpr18_sgpr19
	s_branch .LBB12_2065
.LBB12_2064:                            ;   in Loop: Header=BB12_2065 Depth=1
	s_or_b64 exec, exec, s[22:23]
	s_and_b64 s[20:21], exec, s[26:27]
	s_or_b64 s[14:15], s[20:21], s[14:15]
	s_andn2_b64 s[16:17], s[16:17], exec
	s_and_b64 s[20:21], s[18:19], exec
	s_or_b64 s[16:17], s[16:17], s[20:21]
	s_andn2_b64 exec, exec, s[14:15]
	s_cbranch_execz .LBB12_2069
.LBB12_2065:                            ; =>This Inner Loop Header: Depth=1
	s_add_i32 s28, s28, 1
	s_cmpk_lg_i32 s28, 0x2710
	s_cselect_b64 s[20:21], -1, 0
	s_and_b64 vcc, exec, s[20:21]
	s_cbranch_vccz .LBB12_2067
; %bb.2066:                             ;   in Loop: Header=BB12_2065 Depth=1
	s_mov_b64 s[26:27], -1
	s_or_b64 s[18:19], s[18:19], exec
	s_and_saveexec_b64 s[22:23], s[20:21]
	s_cbranch_execz .LBB12_2064
	s_branch .LBB12_2068
.LBB12_2067:                            ;   in Loop: Header=BB12_2065 Depth=1
	s_trap 2
	ds_read_b64 v[2:3], v0
	s_andn2_b64 s[20:21], s[20:21], exec
	s_mov_b32 s28, 0
	s_waitcnt lgkmcnt(0)
	flat_load_dword v2, v[2:3] glc
	s_waitcnt vmcnt(0) lgkmcnt(0)
	buffer_wbinvl1_vol
	v_cmp_eq_u32_e32 vcc, 0, v2
	s_and_b64 s[22:23], vcc, exec
	s_or_b64 s[20:21], s[20:21], s[22:23]
	s_mov_b64 s[26:27], -1
	s_or_b64 s[18:19], s[18:19], exec
	s_and_saveexec_b64 s[22:23], s[20:21]
	s_cbranch_execz .LBB12_2064
.LBB12_2068:                            ;   in Loop: Header=BB12_2065 Depth=1
	s_sleep 1
	s_trap 2
	ds_read_b64 v[2:3], v0
	s_waitcnt lgkmcnt(0)
	s_andn2_b64 s[18:19], s[18:19], exec
	v_cmp_ge_u64_e32 vcc, v[2:3], v[0:1]
	s_orn2_b64 s[26:27], vcc, exec
	s_branch .LBB12_2064
.LBB12_2069:
	s_or_b64 exec, exec, s[14:15]
	s_and_saveexec_b64 s[14:15], s[16:17]
	s_xor_b64 s[14:15], exec, s[14:15]
	s_cbranch_execz .LBB12_2071
; %bb.2070:
	v_mov_b32_e32 v0, 1
	ds_write_b32 v0, v0
	s_trap 2
.LBB12_2071:
	s_or_b64 exec, exec, s[12:13]
	;;#ASMSTART
	s_wakeup
	;;#ASMEND
.LBB12_2072:
	s_or_b64 exec, exec, s[10:11]
.LBB12_2073:
	s_andn2_saveexec_b64 s[4:5], s[4:5]
	s_cbranch_execz .LBB12_2075
; %bb.2074:
	s_waitcnt lgkmcnt(0)
	buffer_wbinvl1_vol
	s_barrier
.LBB12_2075:
	s_or_b64 exec, exec, s[6:7]
.LBB12_2076:
	s_andn2_saveexec_b64 s[26:27], s[24:25]
	s_cbranch_execz .LBB12_2078
; %bb.2077:
	s_getpc_b64 s[4:5]
	s_add_u32 s4, s4, __PRETTY_FUNCTION__._ZN10PrimitivesI12hip_bfloat167FuncSumIS0_E12FanSymmetricILi1EELi0E11ProtoSimpleILi1ELi1ELi0ELi4ELi0ELi0EELi0ELb0ELi0ELi1ELi0EEC2EiiPKiS9_PKvPvmhhhP15ncclDevWorkCollP14ncclDevWorkP2pii@rel32@lo+4
	s_addc_u32 s5, s5, __PRETTY_FUNCTION__._ZN10PrimitivesI12hip_bfloat167FuncSumIS0_E12FanSymmetricILi1EELi0E11ProtoSimpleILi1ELi1ELi0ELi4ELi0ELi0EELi0ELb0ELi0ELi1ELi0EEC2EiiPKiS9_PKvPvmhhhP15ncclDevWorkCollP14ncclDevWorkP2pii@rel32@hi+12
	s_getpc_b64 s[6:7]
	s_add_u32 s6, s6, __assert_fail@rel32@lo+4
	s_addc_u32 s7, s7, __assert_fail@rel32@hi+12
	v_mov_b32_e32 v0, s4
	v_mov_b32_e32 v1, s5
	s_swappc_b64 s[30:31], s[6:7]
	; divergent unreachable
.LBB12_2078:
	s_or_b64 exec, exec, s[26:27]
	buffer_load_dword v62, off, s[0:3], s33 ; 4-byte Folded Reload
	buffer_load_dword v61, off, s[0:3], s33 offset:4 ; 4-byte Folded Reload
	buffer_load_dword v60, off, s[0:3], s33 offset:8 ; 4-byte Folded Reload
	;; [unrolled: 1-line block ×14, first 2 shown]
	v_readlane_b32 s30, v63, 10
	v_readlane_b32 s31, v63, 11
	;; [unrolled: 1-line block ×12, first 2 shown]
	s_mov_b32 s32, s33
	v_readlane_b32 s4, v63, 12
	s_or_saveexec_b64 s[6:7], -1
	buffer_load_dword v63, off, s[0:3], s33 offset:576 ; 4-byte Folded Reload
	s_mov_b64 exec, s[6:7]
	s_mov_b32 s33, s4
	s_waitcnt vmcnt(0) lgkmcnt(0)
	s_setpc_b64 s[30:31]
.Lfunc_end12:
	.size	_ZN12_GLOBAL__N_17runRingI12hip_bfloat167FuncSumIS1_E11ProtoSimpleILi1ELi1ELi0ELi4ELi0ELi0EELi0ELi4ELi1EEEviiP15ncclDevWorkColl, .Lfunc_end12-_ZN12_GLOBAL__N_17runRingI12hip_bfloat167FuncSumIS1_E11ProtoSimpleILi1ELi1ELi0ELi4ELi0ELi0EELi0ELi4ELi1EEEviiP15ncclDevWorkColl
                                        ; -- End function
	.set .L_ZN12_GLOBAL__N_17runRingI12hip_bfloat167FuncSumIS1_E11ProtoSimpleILi1ELi1ELi0ELi4ELi0ELi0EELi0ELi4ELi1EEEviiP15ncclDevWorkColl.num_vgpr, max(64, .L__assert_fail.num_vgpr)
	.set .L_ZN12_GLOBAL__N_17runRingI12hip_bfloat167FuncSumIS1_E11ProtoSimpleILi1ELi1ELi0ELi4ELi0ELi0EELi0ELi4ELi1EEEviiP15ncclDevWorkColl.num_agpr, max(0, .L__assert_fail.num_agpr)
	.set .L_ZN12_GLOBAL__N_17runRingI12hip_bfloat167FuncSumIS1_E11ProtoSimpleILi1ELi1ELi0ELi4ELi0ELi0EELi0ELi4ELi1EEEviiP15ncclDevWorkColl.numbered_sgpr, max(96, .L__assert_fail.numbered_sgpr)
	.set .L_ZN12_GLOBAL__N_17runRingI12hip_bfloat167FuncSumIS1_E11ProtoSimpleILi1ELi1ELi0ELi4ELi0ELi0EELi0ELi4ELi1EEEviiP15ncclDevWorkColl.num_named_barrier, max(0, .L__assert_fail.num_named_barrier)
	.set .L_ZN12_GLOBAL__N_17runRingI12hip_bfloat167FuncSumIS1_E11ProtoSimpleILi1ELi1ELi0ELi4ELi0ELi0EELi0ELi4ELi1EEEviiP15ncclDevWorkColl.private_seg_size, 592+max(.L__assert_fail.private_seg_size)
	.set .L_ZN12_GLOBAL__N_17runRingI12hip_bfloat167FuncSumIS1_E11ProtoSimpleILi1ELi1ELi0ELi4ELi0ELi0EELi0ELi4ELi1EEEviiP15ncclDevWorkColl.uses_vcc, or(1, .L__assert_fail.uses_vcc)
	.set .L_ZN12_GLOBAL__N_17runRingI12hip_bfloat167FuncSumIS1_E11ProtoSimpleILi1ELi1ELi0ELi4ELi0ELi0EELi0ELi4ELi1EEEviiP15ncclDevWorkColl.uses_flat_scratch, or(0, .L__assert_fail.uses_flat_scratch)
	.set .L_ZN12_GLOBAL__N_17runRingI12hip_bfloat167FuncSumIS1_E11ProtoSimpleILi1ELi1ELi0ELi4ELi0ELi0EELi0ELi4ELi1EEEviiP15ncclDevWorkColl.has_dyn_sized_stack, or(0, .L__assert_fail.has_dyn_sized_stack)
	.set .L_ZN12_GLOBAL__N_17runRingI12hip_bfloat167FuncSumIS1_E11ProtoSimpleILi1ELi1ELi0ELi4ELi0ELi0EELi0ELi4ELi1EEEviiP15ncclDevWorkColl.has_recursion, or(1, .L__assert_fail.has_recursion)
	.set .L_ZN12_GLOBAL__N_17runRingI12hip_bfloat167FuncSumIS1_E11ProtoSimpleILi1ELi1ELi0ELi4ELi0ELi0EELi0ELi4ELi1EEEviiP15ncclDevWorkColl.has_indirect_call, or(0, .L__assert_fail.has_indirect_call)
	.section	.AMDGPU.csdata,"",@progbits
; Function info:
; codeLenInByte = 69728
; TotalNumSgprs: 100
; NumVgprs: 64
; ScratchSize: 656
; MemoryBound: 1
	.text
	.p2align	2                               ; -- Begin function _Z45ncclDevFunc_Reduce_RING_SIMPLE_Sum_bf16_0_1_4v
	.type	_Z45ncclDevFunc_Reduce_RING_SIMPLE_Sum_bf16_0_1_4v,@function
_Z45ncclDevFunc_Reduce_RING_SIMPLE_Sum_bf16_0_1_4v: ; @_Z45ncclDevFunc_Reduce_RING_SIMPLE_Sum_bf16_0_1_4v
; %bb.0:
	s_waitcnt vmcnt(0) expcnt(0) lgkmcnt(0)
	s_mov_b32 s4, s33
	s_mov_b32 s33, s32
	s_or_saveexec_b64 s[6:7], -1
	buffer_store_dword v43, off, s[0:3], s33 offset:16 ; 4-byte Folded Spill
	s_mov_b64 exec, s[6:7]
	v_writelane_b32 v43, s4, 18
	s_addk_i32 s32, 0x800
	buffer_store_dword v40, off, s[0:3], s33 offset:12 ; 4-byte Folded Spill
	buffer_store_dword v41, off, s[0:3], s33 offset:8 ; 4-byte Folded Spill
	;; [unrolled: 1-line block ×3, first 2 shown]
	buffer_store_dword v63, off, s[0:3], s33 ; 4-byte Folded Spill
	v_writelane_b32 v43, s34, 0
	v_writelane_b32 v43, s35, 1
	;; [unrolled: 1-line block ×18, first 2 shown]
	s_trap 2
	ds_read_b32 v0, v0
	v_mov_b32_e32 v40, v31
	s_mov_b32 s54, s12
	s_mov_b64 s[52:53], s[8:9]
	s_waitcnt lgkmcnt(0)
	v_cmp_gt_i32_e32 vcc, 1, v0
	s_cbranch_vccnz .LBB13_8
; %bb.1:
	s_mov_b32 s55, 0
	v_and_b32_e32 v41, 0x3ff, v40
	v_mov_b32_e32 v42, 6
	s_branch .LBB13_3
.LBB13_2:                               ;   in Loop: Header=BB13_3 Depth=1
	s_or_b64 exec, exec, s[64:65]
	s_trap 2
	ds_read_b32 v0, v0
	s_add_i32 s55, s55, 1
	s_waitcnt lgkmcnt(0)
	v_cmp_lt_i32_e32 vcc, s55, v0
	s_cbranch_vccz .LBB13_8
.LBB13_3:                               ; =>This Inner Loop Header: Depth=1
	s_trap 2
	ds_read_b32 v0, v0
	s_cmp_eq_u32 s55, 0
	s_cbranch_scc1 .LBB13_6
; %bb.4:                                ;   in Loop: Header=BB13_3 Depth=1
	s_trap 2
	s_waitcnt lgkmcnt(0)
	ds_read_b32 v1, v0
	s_waitcnt lgkmcnt(0)
	v_xor_b32_e32 v1, v1, v0
	v_and_b32_e32 v1, 0xff0000, v1
	v_cmp_eq_u32_e32 vcc, 0, v1
	s_cbranch_vccnz .LBB13_6
; %bb.5:                                ;   in Loop: Header=BB13_3 Depth=1
	s_waitcnt vmcnt(0)
	s_barrier
	ds_read_b32 v0, v0
.LBB13_6:                               ;   in Loop: Header=BB13_3 Depth=1
	s_waitcnt lgkmcnt(0)
	v_lshlrev_b32_sdwa v1, v42, v0 dst_sel:DWORD dst_unused:UNUSED_PAD src0_sel:DWORD src1_sel:BYTE_2
	v_cmp_lt_u32_e32 vcc, v41, v1
	s_and_saveexec_b64 s[64:65], vcc
	s_cbranch_execz .LBB13_2
; %bb.7:                                ;   in Loop: Header=BB13_3 Depth=1
	s_mov_b64 s[4:5], src_shared_base
	s_getpc_b64 s[6:7]
	s_add_u32 s6, s6, _ZN12_GLOBAL__N_17runRingI12hip_bfloat167FuncSumIS1_E11ProtoSimpleILi1ELi1ELi0ELi4ELi0ELi0EELi0ELi4ELi1EEEviiP15ncclDevWorkColl@rel32@lo+4
	s_addc_u32 s7, s7, _ZN12_GLOBAL__N_17runRingI12hip_bfloat167FuncSumIS1_E11ProtoSimpleILi1ELi1ELi0ELi4ELi0ELi0EELi0ELi4ELi1EEEviiP15ncclDevWorkColl@rel32@hi+12
	s_mov_b64 s[8:9], s[52:53]
	s_mov_b32 s12, s54
	v_mov_b32_e32 v31, v40
	v_mov_b32_e32 v0, v41
	;; [unrolled: 1-line block ×3, first 2 shown]
	s_swappc_b64 s[30:31], s[6:7]
	s_branch .LBB13_2
.LBB13_8:
	buffer_load_dword v63, off, s[0:3], s33 ; 4-byte Folded Reload
	buffer_load_dword v42, off, s[0:3], s33 offset:4 ; 4-byte Folded Reload
	buffer_load_dword v41, off, s[0:3], s33 offset:8 ; 4-byte Folded Reload
	;; [unrolled: 1-line block ×3, first 2 shown]
	v_readlane_b32 s30, v43, 16
	v_readlane_b32 s31, v43, 17
	;; [unrolled: 1-line block ×18, first 2 shown]
	s_mov_b32 s32, s33
	v_readlane_b32 s4, v43, 18
	s_or_saveexec_b64 s[6:7], -1
	buffer_load_dword v43, off, s[0:3], s33 offset:16 ; 4-byte Folded Reload
	s_mov_b64 exec, s[6:7]
	s_mov_b32 s33, s4
	s_waitcnt vmcnt(0)
	s_setpc_b64 s[30:31]
.Lfunc_end13:
	.size	_Z45ncclDevFunc_Reduce_RING_SIMPLE_Sum_bf16_0_1_4v, .Lfunc_end13-_Z45ncclDevFunc_Reduce_RING_SIMPLE_Sum_bf16_0_1_4v
                                        ; -- End function
	.set .L_Z45ncclDevFunc_Reduce_RING_SIMPLE_Sum_bf16_0_1_4v.num_vgpr, max(64, .L_ZN12_GLOBAL__N_17runRingI12hip_bfloat167FuncSumIS1_E11ProtoSimpleILi1ELi1ELi0ELi4ELi0ELi0EELi0ELi4ELi1EEEviiP15ncclDevWorkColl.num_vgpr)
	.set .L_Z45ncclDevFunc_Reduce_RING_SIMPLE_Sum_bf16_0_1_4v.num_agpr, max(0, .L_ZN12_GLOBAL__N_17runRingI12hip_bfloat167FuncSumIS1_E11ProtoSimpleILi1ELi1ELi0ELi4ELi0ELi0EELi0ELi4ELi1EEEviiP15ncclDevWorkColl.num_agpr)
	.set .L_Z45ncclDevFunc_Reduce_RING_SIMPLE_Sum_bf16_0_1_4v.numbered_sgpr, max(66, .L_ZN12_GLOBAL__N_17runRingI12hip_bfloat167FuncSumIS1_E11ProtoSimpleILi1ELi1ELi0ELi4ELi0ELi0EELi0ELi4ELi1EEEviiP15ncclDevWorkColl.numbered_sgpr)
	.set .L_Z45ncclDevFunc_Reduce_RING_SIMPLE_Sum_bf16_0_1_4v.num_named_barrier, max(0, .L_ZN12_GLOBAL__N_17runRingI12hip_bfloat167FuncSumIS1_E11ProtoSimpleILi1ELi1ELi0ELi4ELi0ELi0EELi0ELi4ELi1EEEviiP15ncclDevWorkColl.num_named_barrier)
	.set .L_Z45ncclDevFunc_Reduce_RING_SIMPLE_Sum_bf16_0_1_4v.private_seg_size, 32+max(.L_ZN12_GLOBAL__N_17runRingI12hip_bfloat167FuncSumIS1_E11ProtoSimpleILi1ELi1ELi0ELi4ELi0ELi0EELi0ELi4ELi1EEEviiP15ncclDevWorkColl.private_seg_size)
	.set .L_Z45ncclDevFunc_Reduce_RING_SIMPLE_Sum_bf16_0_1_4v.uses_vcc, or(1, .L_ZN12_GLOBAL__N_17runRingI12hip_bfloat167FuncSumIS1_E11ProtoSimpleILi1ELi1ELi0ELi4ELi0ELi0EELi0ELi4ELi1EEEviiP15ncclDevWorkColl.uses_vcc)
	.set .L_Z45ncclDevFunc_Reduce_RING_SIMPLE_Sum_bf16_0_1_4v.uses_flat_scratch, or(0, .L_ZN12_GLOBAL__N_17runRingI12hip_bfloat167FuncSumIS1_E11ProtoSimpleILi1ELi1ELi0ELi4ELi0ELi0EELi0ELi4ELi1EEEviiP15ncclDevWorkColl.uses_flat_scratch)
	.set .L_Z45ncclDevFunc_Reduce_RING_SIMPLE_Sum_bf16_0_1_4v.has_dyn_sized_stack, or(0, .L_ZN12_GLOBAL__N_17runRingI12hip_bfloat167FuncSumIS1_E11ProtoSimpleILi1ELi1ELi0ELi4ELi0ELi0EELi0ELi4ELi1EEEviiP15ncclDevWorkColl.has_dyn_sized_stack)
	.set .L_Z45ncclDevFunc_Reduce_RING_SIMPLE_Sum_bf16_0_1_4v.has_recursion, or(1, .L_ZN12_GLOBAL__N_17runRingI12hip_bfloat167FuncSumIS1_E11ProtoSimpleILi1ELi1ELi0ELi4ELi0ELi0EELi0ELi4ELi1EEEviiP15ncclDevWorkColl.has_recursion)
	.set .L_Z45ncclDevFunc_Reduce_RING_SIMPLE_Sum_bf16_0_1_4v.has_indirect_call, or(0, .L_ZN12_GLOBAL__N_17runRingI12hip_bfloat167FuncSumIS1_E11ProtoSimpleILi1ELi1ELi0ELi4ELi0ELi0EELi0ELi4ELi1EEEviiP15ncclDevWorkColl.has_indirect_call)
	.section	.AMDGPU.csdata,"",@progbits
; Function info:
; codeLenInByte = 672
; TotalNumSgprs: 100
; NumVgprs: 64
; ScratchSize: 688
; MemoryBound: 0
	.section	.AMDGPU.gpr_maximums,"",@progbits
	.set amdgpu.max_num_vgpr, 64
	.set amdgpu.max_num_agpr, 0
	.set amdgpu.max_num_sgpr, 96
	.section	.AMDGPU.csdata,"",@progbits
	.type	__const.__assert_fail.fmt,@object ; @__const.__assert_fail.fmt
	.section	.rodata.str1.16,"aMS",@progbits,1
	.p2align	4, 0x0
__const.__assert_fail.fmt:
	.asciz	"%s:%u: %s: Device-side assertion `%s' failed.\n"
	.size	__const.__assert_fail.fmt, 47

	.type	.str.3,@object                  ; @.str.3
	.section	.rodata.str1.1,"aMS",@progbits,1
.str.3:
	.asciz	"2*(nrecv+nsend) <= nthreads"
	.size	.str.3, 28

	.type	.str.4,@object                  ; @.str.4
.str.4:
	.asciz	"/root/src/amdgpu-assembly/repos/ROCm__rccl/hipify/src/device/prims_simple.h"
	.size	.str.4, 76

	.type	__PRETTY_FUNCTION__._ZN10PrimitivesI12hip_bfloat167FuncSumIS0_E12FanSymmetricILi1EELi0E11ProtoSimpleILi1ELi1ELi0ELi1ELi0ELi0EELi0ELb0ELi0ELi0ELi0EEC2EiiPKiS9_PKvPvmhhhP15ncclDevWorkCollP14ncclDevWorkP2pii,@object ; @__PRETTY_FUNCTION__._ZN10PrimitivesI12hip_bfloat167FuncSumIS0_E12FanSymmetricILi1EELi0E11ProtoSimpleILi1ELi1ELi0ELi1ELi0ELi0EELi0ELb0ELi0ELi0ELi0EEC2EiiPKiS9_PKvPvmhhhP15ncclDevWorkCollP14ncclDevWorkP2pii
__PRETTY_FUNCTION__._ZN10PrimitivesI12hip_bfloat167FuncSumIS0_E12FanSymmetricILi1EELi0E11ProtoSimpleILi1ELi1ELi0ELi1ELi0ELi0EELi0ELb0ELi0ELi0ELi0EEC2EiiPKiS9_PKvPvmhhhP15ncclDevWorkCollP14ncclDevWorkP2pii:
	.asciz	"Primitives<hip_bfloat16, FuncSum<hip_bfloat16>, FanSymmetric<1>, 0, ProtoSimple<1, 1, 0, 1>, 0>::Primitives(int, int, const int *, const int *, const void *, void *, uint64_t, uint8_t, uint8_t, uint8_t, struct ncclDevWorkColl *, struct ncclDevWorkP2p *, int, int) [T = hip_bfloat16, RedOp = FuncSum<hip_bfloat16>, Fan = FanSymmetric<1>, Direct = 0, Proto = ProtoSimple<1, 1, 0, 1>, P2p = 0, isNetOffload = false, Metadata = 0, Pipeline = 0, useAcc = 0]"
	.size	__PRETTY_FUNCTION__._ZN10PrimitivesI12hip_bfloat167FuncSumIS0_E12FanSymmetricILi1EELi0E11ProtoSimpleILi1ELi1ELi0ELi1ELi0ELi0EELi0ELb0ELi0ELi0ELi0EEC2EiiPKiS9_PKvPvmhhhP15ncclDevWorkCollP14ncclDevWorkP2pii, 453

	.type	__PRETTY_FUNCTION__._ZN10PrimitivesI12hip_bfloat167FuncSumIS0_E12FanSymmetricILi1EELi0E11ProtoSimpleILi1ELi1ELi0ELi1ELi0ELi0EELi0ELb0ELi0ELi1ELi0EEC2EiiPKiS9_PKvPvmhhhP15ncclDevWorkCollP14ncclDevWorkP2pii,@object ; @__PRETTY_FUNCTION__._ZN10PrimitivesI12hip_bfloat167FuncSumIS0_E12FanSymmetricILi1EELi0E11ProtoSimpleILi1ELi1ELi0ELi1ELi0ELi0EELi0ELb0ELi0ELi1ELi0EEC2EiiPKiS9_PKvPvmhhhP15ncclDevWorkCollP14ncclDevWorkP2pii
__PRETTY_FUNCTION__._ZN10PrimitivesI12hip_bfloat167FuncSumIS0_E12FanSymmetricILi1EELi0E11ProtoSimpleILi1ELi1ELi0ELi1ELi0ELi0EELi0ELb0ELi0ELi1ELi0EEC2EiiPKiS9_PKvPvmhhhP15ncclDevWorkCollP14ncclDevWorkP2pii:
	.asciz	"Primitives<hip_bfloat16, FuncSum<hip_bfloat16>, FanSymmetric<1>, 0, ProtoSimple<1, 1, 0, 1>, 0, false, 0, 1>::Primitives(int, int, const int *, const int *, const void *, void *, uint64_t, uint8_t, uint8_t, uint8_t, struct ncclDevWorkColl *, struct ncclDevWorkP2p *, int, int) [T = hip_bfloat16, RedOp = FuncSum<hip_bfloat16>, Fan = FanSymmetric<1>, Direct = 0, Proto = ProtoSimple<1, 1, 0, 1>, P2p = 0, isNetOffload = false, Metadata = 0, Pipeline = 1, useAcc = 0]"
	.size	__PRETTY_FUNCTION__._ZN10PrimitivesI12hip_bfloat167FuncSumIS0_E12FanSymmetricILi1EELi0E11ProtoSimpleILi1ELi1ELi0ELi1ELi0ELi0EELi0ELb0ELi0ELi1ELi0EEC2EiiPKiS9_PKvPvmhhhP15ncclDevWorkCollP14ncclDevWorkP2pii, 466

	.type	__PRETTY_FUNCTION__._ZN10PrimitivesI12hip_bfloat167FuncSumIS0_E12FanSymmetricILi1EELi0E11ProtoSimpleILi1ELi1ELi0ELi2ELi0ELi0EELi0ELb0ELi0ELi0ELi0EEC2EiiPKiS9_PKvPvmhhhP15ncclDevWorkCollP14ncclDevWorkP2pii,@object ; @__PRETTY_FUNCTION__._ZN10PrimitivesI12hip_bfloat167FuncSumIS0_E12FanSymmetricILi1EELi0E11ProtoSimpleILi1ELi1ELi0ELi2ELi0ELi0EELi0ELb0ELi0ELi0ELi0EEC2EiiPKiS9_PKvPvmhhhP15ncclDevWorkCollP14ncclDevWorkP2pii
__PRETTY_FUNCTION__._ZN10PrimitivesI12hip_bfloat167FuncSumIS0_E12FanSymmetricILi1EELi0E11ProtoSimpleILi1ELi1ELi0ELi2ELi0ELi0EELi0ELb0ELi0ELi0ELi0EEC2EiiPKiS9_PKvPvmhhhP15ncclDevWorkCollP14ncclDevWorkP2pii:
	.asciz	"Primitives<hip_bfloat16, FuncSum<hip_bfloat16>, FanSymmetric<1>, 0, ProtoSimple<1, 1, 0, 2>, 0>::Primitives(int, int, const int *, const int *, const void *, void *, uint64_t, uint8_t, uint8_t, uint8_t, struct ncclDevWorkColl *, struct ncclDevWorkP2p *, int, int) [T = hip_bfloat16, RedOp = FuncSum<hip_bfloat16>, Fan = FanSymmetric<1>, Direct = 0, Proto = ProtoSimple<1, 1, 0, 2>, P2p = 0, isNetOffload = false, Metadata = 0, Pipeline = 0, useAcc = 0]"
	.size	__PRETTY_FUNCTION__._ZN10PrimitivesI12hip_bfloat167FuncSumIS0_E12FanSymmetricILi1EELi0E11ProtoSimpleILi1ELi1ELi0ELi2ELi0ELi0EELi0ELb0ELi0ELi0ELi0EEC2EiiPKiS9_PKvPvmhhhP15ncclDevWorkCollP14ncclDevWorkP2pii, 453

	.type	__PRETTY_FUNCTION__._ZN10PrimitivesI12hip_bfloat167FuncSumIS0_E12FanSymmetricILi1EELi0E11ProtoSimpleILi1ELi1ELi0ELi2ELi0ELi0EELi0ELb0ELi0ELi1ELi0EEC2EiiPKiS9_PKvPvmhhhP15ncclDevWorkCollP14ncclDevWorkP2pii,@object ; @__PRETTY_FUNCTION__._ZN10PrimitivesI12hip_bfloat167FuncSumIS0_E12FanSymmetricILi1EELi0E11ProtoSimpleILi1ELi1ELi0ELi2ELi0ELi0EELi0ELb0ELi0ELi1ELi0EEC2EiiPKiS9_PKvPvmhhhP15ncclDevWorkCollP14ncclDevWorkP2pii
__PRETTY_FUNCTION__._ZN10PrimitivesI12hip_bfloat167FuncSumIS0_E12FanSymmetricILi1EELi0E11ProtoSimpleILi1ELi1ELi0ELi2ELi0ELi0EELi0ELb0ELi0ELi1ELi0EEC2EiiPKiS9_PKvPvmhhhP15ncclDevWorkCollP14ncclDevWorkP2pii:
	.asciz	"Primitives<hip_bfloat16, FuncSum<hip_bfloat16>, FanSymmetric<1>, 0, ProtoSimple<1, 1, 0, 2>, 0, false, 0, 1>::Primitives(int, int, const int *, const int *, const void *, void *, uint64_t, uint8_t, uint8_t, uint8_t, struct ncclDevWorkColl *, struct ncclDevWorkP2p *, int, int) [T = hip_bfloat16, RedOp = FuncSum<hip_bfloat16>, Fan = FanSymmetric<1>, Direct = 0, Proto = ProtoSimple<1, 1, 0, 2>, P2p = 0, isNetOffload = false, Metadata = 0, Pipeline = 1, useAcc = 0]"
	.size	__PRETTY_FUNCTION__._ZN10PrimitivesI12hip_bfloat167FuncSumIS0_E12FanSymmetricILi1EELi0E11ProtoSimpleILi1ELi1ELi0ELi2ELi0ELi0EELi0ELb0ELi0ELi1ELi0EEC2EiiPKiS9_PKvPvmhhhP15ncclDevWorkCollP14ncclDevWorkP2pii, 466

	.type	__PRETTY_FUNCTION__._ZN10PrimitivesI12hip_bfloat167FuncSumIS0_E12FanSymmetricILi1EELi0E11ProtoSimpleILi1ELi1ELi0ELi4ELi0ELi0EELi0ELb0ELi0ELi0ELi0EEC2EiiPKiS9_PKvPvmhhhP15ncclDevWorkCollP14ncclDevWorkP2pii,@object ; @__PRETTY_FUNCTION__._ZN10PrimitivesI12hip_bfloat167FuncSumIS0_E12FanSymmetricILi1EELi0E11ProtoSimpleILi1ELi1ELi0ELi4ELi0ELi0EELi0ELb0ELi0ELi0ELi0EEC2EiiPKiS9_PKvPvmhhhP15ncclDevWorkCollP14ncclDevWorkP2pii
__PRETTY_FUNCTION__._ZN10PrimitivesI12hip_bfloat167FuncSumIS0_E12FanSymmetricILi1EELi0E11ProtoSimpleILi1ELi1ELi0ELi4ELi0ELi0EELi0ELb0ELi0ELi0ELi0EEC2EiiPKiS9_PKvPvmhhhP15ncclDevWorkCollP14ncclDevWorkP2pii:
	.asciz	"Primitives<hip_bfloat16, FuncSum<hip_bfloat16>, FanSymmetric<1>, 0, ProtoSimple<1, 1, 0, 4>, 0>::Primitives(int, int, const int *, const int *, const void *, void *, uint64_t, uint8_t, uint8_t, uint8_t, struct ncclDevWorkColl *, struct ncclDevWorkP2p *, int, int) [T = hip_bfloat16, RedOp = FuncSum<hip_bfloat16>, Fan = FanSymmetric<1>, Direct = 0, Proto = ProtoSimple<1, 1, 0, 4>, P2p = 0, isNetOffload = false, Metadata = 0, Pipeline = 0, useAcc = 0]"
	.size	__PRETTY_FUNCTION__._ZN10PrimitivesI12hip_bfloat167FuncSumIS0_E12FanSymmetricILi1EELi0E11ProtoSimpleILi1ELi1ELi0ELi4ELi0ELi0EELi0ELb0ELi0ELi0ELi0EEC2EiiPKiS9_PKvPvmhhhP15ncclDevWorkCollP14ncclDevWorkP2pii, 453

	.type	__PRETTY_FUNCTION__._ZN10PrimitivesI12hip_bfloat167FuncSumIS0_E12FanSymmetricILi1EELi0E11ProtoSimpleILi1ELi1ELi0ELi4ELi0ELi0EELi0ELb0ELi0ELi1ELi0EEC2EiiPKiS9_PKvPvmhhhP15ncclDevWorkCollP14ncclDevWorkP2pii,@object ; @__PRETTY_FUNCTION__._ZN10PrimitivesI12hip_bfloat167FuncSumIS0_E12FanSymmetricILi1EELi0E11ProtoSimpleILi1ELi1ELi0ELi4ELi0ELi0EELi0ELb0ELi0ELi1ELi0EEC2EiiPKiS9_PKvPvmhhhP15ncclDevWorkCollP14ncclDevWorkP2pii
__PRETTY_FUNCTION__._ZN10PrimitivesI12hip_bfloat167FuncSumIS0_E12FanSymmetricILi1EELi0E11ProtoSimpleILi1ELi1ELi0ELi4ELi0ELi0EELi0ELb0ELi0ELi1ELi0EEC2EiiPKiS9_PKvPvmhhhP15ncclDevWorkCollP14ncclDevWorkP2pii:
	.asciz	"Primitives<hip_bfloat16, FuncSum<hip_bfloat16>, FanSymmetric<1>, 0, ProtoSimple<1, 1, 0, 4>, 0, false, 0, 1>::Primitives(int, int, const int *, const int *, const void *, void *, uint64_t, uint8_t, uint8_t, uint8_t, struct ncclDevWorkColl *, struct ncclDevWorkP2p *, int, int) [T = hip_bfloat16, RedOp = FuncSum<hip_bfloat16>, Fan = FanSymmetric<1>, Direct = 0, Proto = ProtoSimple<1, 1, 0, 4>, P2p = 0, isNetOffload = false, Metadata = 0, Pipeline = 1, useAcc = 0]"
	.size	__PRETTY_FUNCTION__._ZN10PrimitivesI12hip_bfloat167FuncSumIS0_E12FanSymmetricILi1EELi0E11ProtoSimpleILi1ELi1ELi0ELi4ELi0ELi0EELi0ELb0ELi0ELi1ELi0EEC2EiiPKiS9_PKvPvmhhhP15ncclDevWorkCollP14ncclDevWorkP2pii, 466

	.type	__hip_cuid_703c5e50bfc4b205,@object ; @__hip_cuid_703c5e50bfc4b205
	.section	.bss,"aw",@nobits
	.globl	__hip_cuid_703c5e50bfc4b205
__hip_cuid_703c5e50bfc4b205:
	.byte	0                               ; 0x0
	.size	__hip_cuid_703c5e50bfc4b205, 1

	.ident	"AMD clang version 22.0.0git (https://github.com/RadeonOpenCompute/llvm-project roc-7.2.4 26084 f58b06dce1f9c15707c5f808fd002e18c2accf7e)"
	.section	".note.GNU-stack","",@progbits
	.addrsig
	.addrsig_sym _Z45ncclDevFunc_Reduce_RING_SIMPLE_Sum_bf16_0_0_1v
	.addrsig_sym _Z45ncclDevFunc_Reduce_RING_SIMPLE_Sum_bf16_0_1_1v
	.addrsig_sym _Z45ncclDevFunc_Reduce_RING_SIMPLE_Sum_bf16_0_0_2v
	.addrsig_sym _Z45ncclDevFunc_Reduce_RING_SIMPLE_Sum_bf16_0_1_2v
	.addrsig_sym _Z45ncclDevFunc_Reduce_RING_SIMPLE_Sum_bf16_0_0_4v
	.addrsig_sym _Z45ncclDevFunc_Reduce_RING_SIMPLE_Sum_bf16_0_1_4v
	.addrsig_sym ncclShmem
	.addrsig_sym __hip_cuid_703c5e50bfc4b205
	.amdgpu_metadata
---
amdhsa.kernels:  []
amdhsa.target:   amdgcn-amd-amdhsa--gfx906
amdhsa.version:
  - 1
  - 2
...

	.end_amdgpu_metadata
